;; amdgpu-corpus repo=ROCm/rocFFT kind=compiled arch=gfx1201 opt=O3
	.text
	.amdgcn_target "amdgcn-amd-amdhsa--gfx1201"
	.amdhsa_code_object_version 6
	.protected	bluestein_single_back_len135_dim1_sp_op_CI_CI ; -- Begin function bluestein_single_back_len135_dim1_sp_op_CI_CI
	.globl	bluestein_single_back_len135_dim1_sp_op_CI_CI
	.p2align	8
	.type	bluestein_single_back_len135_dim1_sp_op_CI_CI,@function
bluestein_single_back_len135_dim1_sp_op_CI_CI: ; @bluestein_single_back_len135_dim1_sp_op_CI_CI
; %bb.0:
	s_load_b128 s[8:11], s[0:1], 0x28
	v_mul_u32_u24_e32 v1, 0x1c72, v0
	s_mov_b32 s2, exec_lo
	s_delay_alu instid0(VALU_DEP_1) | instskip(NEXT) | instid1(VALU_DEP_1)
	v_lshrrev_b32_e32 v1, 16, v1
	v_mad_co_u64_u32 v[102:103], null, ttmp9, 14, v[1:2]
	v_mov_b32_e32 v103, 0
	s_wait_kmcnt 0x0
	s_delay_alu instid0(VALU_DEP_1)
	v_cmpx_gt_u64_e64 s[8:9], v[102:103]
	s_cbranch_execz .LBB0_2
; %bb.1:
	s_load_b128 s[4:7], s[0:1], 0x18
	v_mul_lo_u16 v1, v1, 9
	s_delay_alu instid0(VALU_DEP_1) | instskip(NEXT) | instid1(VALU_DEP_1)
	v_sub_nc_u16 v40, v0, v1
	v_and_b32_e32 v138, 0xffff, v40
	s_wait_kmcnt 0x0
	s_load_b128 s[12:15], s[4:5], 0x0
	s_wait_kmcnt 0x0
	v_mad_co_u64_u32 v[0:1], null, s14, v102, 0
	v_mad_co_u64_u32 v[2:3], null, s12, v138, 0
	s_mul_u64 s[2:3], s[12:13], 0xd8
	s_mul_i32 s4, s13, 0xfffffce8
	s_delay_alu instid0(SALU_CYCLE_1) | instskip(NEXT) | instid1(VALU_DEP_1)
	s_sub_co_i32 s4, s4, s12
	v_mad_co_u64_u32 v[4:5], null, s15, v102, v[1:2]
	s_delay_alu instid0(VALU_DEP_1) | instskip(NEXT) | instid1(VALU_DEP_3)
	v_mov_b32_e32 v1, v4
	v_mad_co_u64_u32 v[5:6], null, s13, v138, v[3:4]
	v_add_co_u32 v44, null, v138, 18
	s_delay_alu instid0(VALU_DEP_3)
	v_lshlrev_b64_e32 v[0:1], 3, v[0:1]
	v_lshlrev_b32_e32 v60, 3, v138
	v_add_co_u32 v48, null, v138, 27
	v_mov_b32_e32 v3, v5
	v_add_co_u32 v52, null, v138, 36
	v_add_co_u32 v0, vcc_lo, s10, v0
	v_add_co_ci_u32_e32 v1, vcc_lo, s11, v1, vcc_lo
	s_load_b128 s[8:11], s[0:1], 0x0
	v_lshlrev_b64_e32 v[2:3], 3, v[2:3]
	v_mul_u32_u24_e32 v47, 5, v44
	s_wait_kmcnt 0x0
	s_clause 0x2
	global_load_b64 v[76:77], v60, s[8:9] offset:216
	global_load_b64 v[74:75], v60, s[8:9] offset:432
	;; [unrolled: 1-line block ×3, first 2 shown]
	v_add_co_u32 v0, vcc_lo, v0, v2
	s_wait_alu 0xfffd
	v_add_co_ci_u32_e32 v1, vcc_lo, v1, v3, vcc_lo
	s_clause 0x2
	global_load_b64 v[78:79], v60, s[8:9] offset:864
	global_load_b64 v[82:83], v60, s[8:9]
	global_load_b64 v[80:81], v60, s[8:9] offset:72
	v_add_co_u32 v4, vcc_lo, v0, s2
	global_load_b64 v[2:3], v[0:1], off
	s_wait_alu 0xfffd
	v_add_co_ci_u32_e32 v5, vcc_lo, s3, v1, vcc_lo
	v_add_co_u32 v8, vcc_lo, v4, s2
	global_load_b64 v[6:7], v[4:5], off
	s_wait_alu 0xfffd
	v_add_co_ci_u32_e32 v9, vcc_lo, s3, v5, vcc_lo
	v_add_co_u32 v10, vcc_lo, v8, s2
	s_wait_alu 0xfffd
	s_delay_alu instid0(VALU_DEP_2)
	v_add_co_ci_u32_e32 v11, vcc_lo, s3, v9, vcc_lo
	global_load_b64 v[8:9], v[8:9], off
	v_add_co_u32 v12, vcc_lo, v10, s2
	s_wait_alu 0xfffd
	v_add_co_ci_u32_e32 v13, vcc_lo, s3, v11, vcc_lo
	global_load_b64 v[0:1], v[10:11], off
	v_and_b32_e32 v37, 0xff, v44
	v_and_b32_e32 v32, 0xff, v48
	v_mad_co_u64_u32 v[14:15], null, 0xfffffce8, s12, v[12:13]
	global_load_b64 v[4:5], v[12:13], off
	v_mul_lo_u16 v42, 0xcd, v37
	v_add_nc_u32_e32 v15, s4, v15
	v_add_co_u32 v16, vcc_lo, v14, s2
	s_wait_alu 0xfffd
	s_delay_alu instid0(VALU_DEP_2) | instskip(NEXT) | instid1(VALU_DEP_2)
	v_add_co_ci_u32_e32 v17, vcc_lo, s3, v15, vcc_lo
	v_add_co_u32 v18, vcc_lo, v16, s2
	global_load_b64 v[10:11], v[14:15], off
	s_wait_alu 0xfffd
	v_add_co_ci_u32_e32 v19, vcc_lo, s3, v17, vcc_lo
	v_add_co_u32 v20, vcc_lo, v18, s2
	s_clause 0x2
	global_load_b64 v[88:89], v60, s[8:9] offset:288
	global_load_b64 v[84:85], v60, s[8:9] offset:504
	;; [unrolled: 1-line block ×3, first 2 shown]
	s_wait_alu 0xfffd
	v_add_co_ci_u32_e32 v21, vcc_lo, s3, v19, vcc_lo
	v_add_co_u32 v14, vcc_lo, v20, s2
	global_load_b64 v[90:91], v60, s[8:9] offset:144
	global_load_b64 v[12:13], v[16:17], off
	s_clause 0x1
	global_load_b64 v[92:93], v60, s[8:9] offset:360
	global_load_b64 v[94:95], v60, s[8:9] offset:720
	global_load_b64 v[26:27], v[18:19], off
	global_load_b64 v[96:97], v60, s[8:9] offset:576
	global_load_b64 v[24:25], v[20:21], off
	s_wait_alu 0xfffd
	v_add_co_ci_u32_e32 v15, vcc_lo, s3, v21, vcc_lo
	s_delay_alu instid0(VALU_DEP_1)
	v_mad_co_u64_u32 v[28:29], null, 0xfffffce8, s12, v[14:15]
	global_load_b64 v[22:23], v[14:15], off
	v_add_nc_u32_e32 v29, s4, v29
	v_add_co_u32 v14, vcc_lo, v28, s2
	s_wait_loadcnt 0x10
	v_mul_f32_e32 v50, v2, v83
	s_wait_alu 0xfffd
	v_add_co_ci_u32_e32 v15, vcc_lo, s3, v29, vcc_lo
	v_add_co_u32 v20, vcc_lo, v14, s2
	global_load_b64 v[16:17], v[28:29], off
	s_wait_alu 0xfffd
	v_add_co_ci_u32_e32 v21, vcc_lo, s3, v15, vcc_lo
	v_add_co_u32 v28, vcc_lo, v20, s2
	global_load_b64 v[18:19], v[14:15], off
	s_wait_alu 0xfffd
	v_add_co_ci_u32_e32 v29, vcc_lo, s3, v21, vcc_lo
	global_load_b64 v[14:15], v[20:21], off
	v_add_co_u32 v20, vcc_lo, v28, s2
	s_wait_alu 0xfffd
	v_add_co_ci_u32_e32 v21, vcc_lo, s3, v29, vcc_lo
	global_load_b64 v[98:99], v60, s[8:9] offset:792
	global_load_b64 v[28:29], v[28:29], off
	global_load_b64 v[100:101], v60, s[8:9] offset:1008
	global_load_b64 v[30:31], v[20:21], off
	v_lshrrev_b32_e32 v20, 1, v102
	v_mul_lo_u16 v21, v40, 5
	v_cmp_gt_u16_e32 vcc_lo, 5, v40
	v_add_co_u32 v41, s2, v138, 9
	s_delay_alu instid0(VALU_DEP_4) | instskip(NEXT) | instid1(VALU_DEP_4)
	v_mul_hi_u32 v20, 0x92492493, v20
	v_and_b32_e32 v39, 0xffff, v21
	v_add_co_u32 v21, s3, v138, -5
	s_wait_alu 0xf1ff
	v_add_co_ci_u32_e64 v33, null, 0, -1, s3
	s_wait_loadcnt 0x15
	v_mul_f32_e32 v57, v8, v75
	v_fma_f32 v50, v3, v82, -v50
	v_lshrrev_b32_e32 v20, 2, v20
	v_mul_u32_u24_e32 v43, 5, v41
	s_load_b128 s[4:7], s[6:7], 0x0
	v_dual_mul_f32 v53, v9, v75 :: v_dual_mul_f32 v54, v6, v77
	s_delay_alu instid0(VALU_DEP_3) | instskip(SKIP_4) | instid1(VALU_DEP_2)
	v_mul_lo_u32 v34, v20, 14
	v_cndmask_b32_e32 v20, v21, v138, vcc_lo
	v_cndmask_b32_e64 v21, v33, 0, vcc_lo
	s_wait_loadcnt 0x12
	v_dual_fmac_f32 v53, v8, v74 :: v_dual_mul_f32 v8, v10, v81
	v_lshlrev_b64_e32 v[37:38], 4, v[20:21]
	v_sub_nc_u32_e32 v49, v102, v34
	v_lshrrev_b16 v21, 10, v42
	s_delay_alu instid0(VALU_DEP_2) | instskip(SKIP_3) | instid1(VALU_DEP_4)
	v_mul_u32_u24_e32 v42, 0x87, v49
	v_dual_mul_f32 v49, v3, v83 :: v_dual_and_b32 v36, 0xff, v52
	v_mul_lo_u16 v45, 0xcd, v32
	v_fma_f32 v3, v7, v76, -v54
	v_lshlrev_b32_e32 v42, 3, v42
	s_delay_alu instid0(VALU_DEP_4) | instskip(SKIP_2) | instid1(VALU_DEP_4)
	v_dual_fmac_f32 v49, v2, v82 :: v_dual_mul_f32 v2, v7, v77
	v_mul_lo_u16 v46, 0xcd, v36
	v_mul_f32_e32 v7, v0, v73
	v_add_nc_u32_e32 v137, v60, v42
	v_lshl_add_u32 v140, v43, 3, v42
	v_fmac_f32_e32 v2, v6, v76
	v_mul_f32_e32 v6, v1, v73
	v_and_b32_e32 v35, 0xff, v41
	v_fma_f32 v54, v9, v74, -v57
	v_lshrrev_b16 v34, 10, v46
	v_lshl_add_u32 v139, v47, 3, v42
	v_fmac_f32_e32 v6, v0, v72
	v_mul_lo_u16 v33, 0xcd, v35
	v_mul_f32_e32 v0, v5, v79
	ds_store_b64 v137, v[2:3] offset:216
	v_dual_mul_f32 v3, v4, v79 :: v_dual_mul_f32 v2, v11, v81
	v_lshrrev_b16 v35, 10, v33
	v_lshrrev_b16 v33, 10, v45
	v_add_co_u32 v45, vcc_lo, s10, v37
	s_wait_alu 0xfffd
	v_add_co_ci_u32_e32 v46, vcc_lo, s11, v38, vcc_lo
	v_mul_lo_u16 v37, v35, 5
	v_mul_lo_u16 v38, v21, 5
	v_fmac_f32_e32 v2, v10, v80
	v_fma_f32 v7, v1, v72, -v7
	v_fmac_f32_e32 v0, v4, v78
	v_sub_nc_u16 v37, v41, v37
	v_fma_f32 v1, v5, v78, -v3
	s_wait_loadcnt 0xd
	v_mul_f32_e32 v4, v13, v89
	v_sub_nc_u16 v38, v44, v38
	ds_store_b64 v137, v[53:54] offset:432
	ds_store_b64 v137, v[6:7] offset:648
	;; [unrolled: 1-line block ×3, first 2 shown]
	v_lshlrev_b16 v56, 1, v37
	s_wait_loadcnt 0x7
	v_mul_f32_e32 v6, v23, v87
	v_mul_f32_e32 v7, v22, v87
	v_fma_f32 v3, v11, v80, -v8
	v_mul_f32_e32 v0, v27, v85
	v_dual_fmac_f32 v4, v12, v88 :: v_dual_mul_f32 v1, v26, v85
	s_delay_alu instid0(VALU_DEP_4)
	v_fma_f32 v7, v23, v86, -v7
	v_dual_fmac_f32 v6, v22, v86 :: v_dual_and_b32 v23, 0xfe, v56
	v_lshlrev_b16 v22, 1, v38
	ds_store_2addr_b64 v137, v[49:50], v[2:3] offset1:9
	v_mul_f32_e32 v2, v25, v95
	v_mul_f32_e32 v3, v24, v95
	v_fma_f32 v1, v27, v84, -v1
	v_mul_lo_u16 v51, v33, 5
	v_mul_lo_u16 v55, v34, 5
	v_lshl_add_u32 v141, v39, 3, v42
	v_fma_f32 v3, v25, v94, -v3
	v_cmp_gt_u16_e32 vcc_lo, 6, v40
	v_sub_nc_u16 v49, v48, v51
	v_sub_nc_u16 v50, v52, v55
	v_and_b32_e32 v43, 0xfe, v22
	v_lshlrev_b32_e32 v47, 3, v23
	s_delay_alu instid0(VALU_DEP_4)
	v_lshlrev_b16 v39, 1, v49
	s_wait_loadcnt 0x6
	v_mul_f32_e32 v9, v16, v91
	v_dual_mul_f32 v5, v12, v89 :: v_dual_fmac_f32 v0, v26, v84
	v_mul_f32_e32 v8, v17, v91
	s_wait_loadcnt 0x5
	v_mul_f32_e32 v10, v19, v93
	v_mul_f32_e32 v11, v18, v93
	v_fma_f32 v5, v13, v88, -v5
	s_wait_loadcnt 0x4
	v_mul_f32_e32 v12, v15, v97
	v_mul_f32_e32 v13, v14, v97
	v_fma_f32 v9, v17, v90, -v9
	s_wait_loadcnt 0x2
	v_mul_f32_e32 v17, v28, v99
	v_fmac_f32_e32 v8, v16, v90
	v_fmac_f32_e32 v12, v14, v96
	v_mul_f32_e32 v14, v29, v99
	v_fmac_f32_e32 v10, v18, v92
	s_wait_loadcnt 0x0
	v_mul_f32_e32 v16, v31, v101
	v_mul_f32_e32 v18, v30, v101
	v_fma_f32 v11, v19, v92, -v11
	v_fma_f32 v13, v15, v96, -v13
	v_fmac_f32_e32 v2, v24, v94
	v_fmac_f32_e32 v14, v28, v98
	v_fma_f32 v15, v29, v98, -v17
	v_fmac_f32_e32 v16, v30, v100
	v_fma_f32 v17, v31, v100, -v18
	ds_store_b64 v137, v[8:9] offset:144
	ds_store_2addr_b64 v137, v[4:5], v[10:11] offset0:36 offset1:45
	ds_store_2addr_b64 v137, v[0:1], v[12:13] offset0:63 offset1:72
	;; [unrolled: 1-line block ×4, first 2 shown]
	global_wb scope:SCOPE_SE
	s_wait_dscnt 0x0
	s_wait_kmcnt 0x0
	s_barrier_signal -1
	s_barrier_wait -1
	global_inv scope:SCOPE_SE
	ds_load_2addr_b64 v[0:3], v137 offset1:9
	ds_load_2addr_b64 v[4:7], v137 offset0:18 offset1:27
	ds_load_2addr_b64 v[8:11], v137 offset0:54 offset1:63
	;; [unrolled: 1-line block ×6, first 2 shown]
	ds_load_b64 v[30:31], v137 offset:1008
	global_wb scope:SCOPE_SE
	s_wait_dscnt 0x0
	s_barrier_signal -1
	s_barrier_wait -1
	global_inv scope:SCOPE_SE
	v_add_f32_e32 v51, v0, v6
	v_sub_f32_e32 v69, v9, v7
	v_dual_add_f32 v53, v8, v14 :: v_dual_add_f32 v58, v6, v16
	v_add_f32_e32 v111, v3, v23
	v_dual_add_f32 v63, v9, v15 :: v_dual_sub_f32 v56, v6, v8
	v_sub_f32_e32 v105, v11, v27
	v_dual_sub_f32 v57, v16, v14 :: v_dual_add_f32 v62, v1, v7
	v_dual_add_f32 v103, v10, v26 :: v_dual_add_f32 v68, v7, v17
	v_dual_sub_f32 v109, v10, v22 :: v_dual_sub_f32 v54, v7, v17
	v_sub_f32_e32 v61, v14, v16
	v_dual_sub_f32 v59, v8, v6 :: v_dual_sub_f32 v66, v7, v9
	v_sub_f32_e32 v107, v18, v26
	v_sub_f32_e32 v67, v17, v15
	v_add_f32_e32 v71, v2, v22
	v_dual_add_f32 v108, v22, v18 :: v_dual_sub_f32 v117, v27, v19
	v_dual_add_f32 v112, v11, v27 :: v_dual_sub_f32 v123, v30, v28
	;; [unrolled: 1-line block ×3, first 2 shown]
	v_dual_sub_f32 v55, v9, v15 :: v_dual_sub_f32 v64, v6, v16
	v_sub_f32_e32 v115, v19, v27
	v_dual_sub_f32 v70, v15, v17 :: v_dual_sub_f32 v113, v22, v18
	v_dual_sub_f32 v104, v23, v19 :: v_dual_add_f32 v119, v12, v28
	v_sub_f32_e32 v106, v22, v10
	v_dual_sub_f32 v22, v23, v11 :: v_dual_add_f32 v127, v5, v25
	v_dual_sub_f32 v23, v11, v23 :: v_dual_add_f32 v118, v4, v24
	v_dual_sub_f32 v131, v31, v29 :: v_dual_sub_f32 v120, v25, v31
	v_add_f32_e32 v51, v51, v8
	v_sub_f32_e32 v122, v24, v12
	v_dual_add_f32 v124, v24, v30 :: v_dual_sub_f32 v133, v29, v31
	v_add_f32_e32 v128, v13, v29
	v_add_f32_e32 v132, v25, v31
	v_fma_f32 v6, -0.5, v53, v0
	v_add_f32_e32 v53, v56, v57
	v_fma_f32 v0, -0.5, v58, v0
	v_fma_f32 v7, -0.5, v63, v1
	v_sub_f32_e32 v65, v8, v14
	v_dual_sub_f32 v126, v28, v30 :: v_dual_add_f32 v57, v62, v9
	v_fma_f32 v1, -0.5, v68, v1
	v_dual_sub_f32 v110, v26, v18 :: v_dual_sub_f32 v121, v13, v29
	v_dual_sub_f32 v114, v10, v26 :: v_dual_sub_f32 v125, v12, v24
	v_sub_f32_e32 v24, v25, v13
	s_delay_alu instid0(VALU_DEP_3)
	v_dual_add_f32 v56, v59, v61 :: v_dual_add_f32 v63, v109, v110
	v_dual_add_f32 v58, v66, v67 :: v_dual_add_f32 v61, v71, v10
	v_fma_f32 v8, -0.5, v103, v2
	v_fma_f32 v2, -0.5, v108, v2
	v_add_f32_e32 v66, v111, v11
	v_fma_f32 v9, -0.5, v112, v3
	v_sub_f32_e32 v25, v13, v25
	v_fmac_f32_e32 v3, -0.5, v116
	v_dual_sub_f32 v130, v12, v28 :: v_dual_add_f32 v59, v69, v70
	v_dual_add_f32 v68, v23, v117 :: v_dual_add_f32 v69, v118, v12
	v_fma_f32 v10, -0.5, v119, v4
	v_dual_add_f32 v70, v122, v123 :: v_dual_add_f32 v103, v127, v13
	v_fma_f32 v4, -0.5, v124, v4
	v_fma_f32 v11, -0.5, v128, v5
	v_fmac_f32_e32 v5, -0.5, v132
	v_dual_add_f32 v51, v51, v14 :: v_dual_fmamk_f32 v12, v54, 0x3f737871, v6
	v_dual_fmamk_f32 v14, v55, 0xbf737871, v0 :: v_dual_fmamk_f32 v13, v64, 0xbf737871, v7
	v_dual_fmac_f32 v0, 0x3f737871, v55 :: v_dual_fmac_f32 v7, 0x3f737871, v64
	v_dual_fmac_f32 v6, 0xbf737871, v54 :: v_dual_add_f32 v57, v57, v15
	v_fmamk_f32 v15, v65, 0x3f737871, v1
	v_dual_fmac_f32 v1, 0xbf737871, v65 :: v_dual_add_f32 v62, v106, v107
	v_add_f32_e32 v71, v125, v126
	v_add_f32_e32 v67, v22, v115
	v_dual_add_f32 v106, v24, v131 :: v_dual_add_f32 v107, v25, v133
	v_dual_add_f32 v61, v61, v26 :: v_dual_fmamk_f32 v22, v104, 0x3f737871, v8
	v_fmamk_f32 v24, v105, 0xbf737871, v2
	v_fmac_f32_e32 v2, 0x3f737871, v105
	v_dual_add_f32 v66, v66, v27 :: v_dual_fmamk_f32 v23, v113, 0xbf737871, v9
	v_fmamk_f32 v25, v114, 0x3f737871, v3
	v_dual_fmac_f32 v3, 0xbf737871, v114 :: v_dual_fmac_f32 v8, 0xbf737871, v104
	v_dual_fmac_f32 v9, 0x3f737871, v113 :: v_dual_fmamk_f32 v26, v120, 0x3f737871, v10
	v_dual_add_f32 v69, v69, v28 :: v_dual_fmac_f32 v12, 0x3f167918, v55
	v_dual_fmac_f32 v10, 0xbf737871, v120 :: v_dual_add_f32 v103, v103, v29
	v_fmamk_f32 v28, v121, 0xbf737871, v4
	v_fmac_f32_e32 v4, 0x3f737871, v121
	v_dual_fmamk_f32 v27, v129, 0xbf737871, v11 :: v_dual_add_f32 v16, v51, v16
	v_dual_fmac_f32 v11, 0x3f737871, v129 :: v_dual_add_f32 v18, v61, v18
	v_dual_fmamk_f32 v29, v130, 0x3f737871, v5 :: v_dual_add_f32 v30, v69, v30
	v_fmac_f32_e32 v5, 0xbf737871, v130
	v_dual_fmac_f32 v0, 0xbf167918, v54 :: v_dual_fmac_f32 v13, 0xbf167918, v65
	v_dual_fmac_f32 v14, 0x3f167918, v54 :: v_dual_fmac_f32 v7, 0x3f167918, v65
	;; [unrolled: 1-line block ×4, first 2 shown]
	v_dual_fmac_f32 v6, 0xbf167918, v55 :: v_dual_add_f32 v17, v57, v17
	v_dual_fmac_f32 v2, 0xbf167918, v104 :: v_dual_fmac_f32 v23, 0xbf167918, v114
	v_dual_fmac_f32 v24, 0x3f167918, v104 :: v_dual_add_f32 v19, v66, v19
	v_dual_fmac_f32 v25, 0xbf167918, v113 :: v_dual_fmac_f32 v4, 0xbf167918, v120
	v_dual_fmac_f32 v3, 0x3f167918, v113 :: v_dual_fmac_f32 v28, 0x3f167918, v120
	;; [unrolled: 1-line block ×3, first 2 shown]
	v_dual_fmac_f32 v10, 0xbf167918, v121 :: v_dual_add_f32 v31, v103, v31
	v_fmac_f32_e32 v27, 0xbf167918, v130
	v_fmac_f32_e32 v11, 0x3f167918, v130
	;; [unrolled: 1-line block ×4, first 2 shown]
	v_dual_fmac_f32 v12, 0x3e9e377a, v53 :: v_dual_fmac_f32 v13, 0x3e9e377a, v58
	v_dual_fmac_f32 v14, 0x3e9e377a, v56 :: v_dual_fmac_f32 v15, 0x3e9e377a, v59
	;; [unrolled: 1-line block ×12, first 2 shown]
	ds_store_2addr_b64 v141, v[16:17], v[12:13] offset1:1
	ds_store_2addr_b64 v141, v[14:15], v[0:1] offset0:2 offset1:3
	ds_store_b64 v141, v[6:7] offset:32
	ds_store_2addr_b64 v140, v[18:19], v[22:23] offset1:1
	ds_store_2addr_b64 v140, v[24:25], v[2:3] offset0:2 offset1:3
	ds_store_b64 v140, v[8:9] offset:32
	ds_store_b64 v139, v[10:11] offset:32
	ds_store_2addr_b64 v139, v[30:31], v[26:27] offset1:1
	ds_store_2addr_b64 v139, v[28:29], v[4:5] offset0:2 offset1:3
	v_lshlrev_b32_e32 v2, 3, v43
	global_wb scope:SCOPE_SE
	s_wait_dscnt 0x0
	s_barrier_signal -1
	s_barrier_wait -1
	global_inv scope:SCOPE_SE
	s_clause 0x2
	global_load_b128 v[12:15], v[45:46], off
	global_load_b128 v[16:19], v47, s[10:11]
	global_load_b128 v[8:11], v2, s[10:11]
	v_lshlrev_b16 v0, 1, v50
	v_and_b32_e32 v1, 0xfe, v39
	v_add_co_u32 v22, s3, v138, -6
	v_add_co_ci_u32_e64 v23, null, 0, 0, s2
	s_wait_alu 0xfffd
	s_delay_alu instid0(VALU_DEP_2) | instskip(SKIP_3) | instid1(VALU_DEP_3)
	v_dual_cndmask_b32 v45, v22, v41 :: v_dual_and_b32 v0, 0xfe, v0
	v_lshlrev_b32_e32 v1, 3, v1
	s_wait_alu 0xf1ff
	v_add_co_ci_u32_e64 v24, null, 0, -1, s3
	v_lshlrev_b32_e32 v0, 3, v0
	s_clause 0x1
	global_load_b128 v[4:7], v1, s[10:11]
	global_load_b128 v[0:3], v0, s[10:11]
	v_cmp_lt_u16_e64 s2, 4, v40
	v_mul_lo_u16 v22, 0x89, v32
	v_cndmask_b32_e32 v46, v24, v23, vcc_lo
	v_mul_lo_u16 v25, 0x89, v36
	v_mad_u16 v28, v33, 15, v49
	s_wait_alu 0xf1ff
	v_cndmask_b32_e64 v24, 0, 15, s2
	v_lshrrev_b16 v43, 11, v22
	v_lshlrev_b64_e32 v[22:23], 4, v[45:46]
	v_lshrrev_b16 v25, 11, v25
	v_mad_u16 v32, v34, 15, v50
	v_add_nc_u32_e32 v20, v20, v24
	v_mul_lo_u16 v24, v43, 15
	v_add_co_u32 v46, vcc_lo, s10, v22
	v_mad_u16 v22, v35, 15, v37
	v_mul_lo_u16 v25, v25, 15
	s_delay_alu instid0(VALU_DEP_4)
	v_sub_nc_u16 v59, v48, v24
	v_mad_u16 v24, v21, 15, v38
	s_wait_alu 0xfffd
	v_add_co_ci_u32_e32 v47, vcc_lo, s11, v23, vcc_lo
	v_lshl_add_u32 v142, v20, 3, v42
	v_and_b32_e32 v35, 0xff, v28
	ds_load_2addr_b64 v[28:31], v137 offset0:54 offset1:63
	v_and_b32_e32 v33, 0xff, v22
	ds_load_2addr_b64 v[20:23], v137 offset0:36 offset1:45
	v_sub_nc_u16 v65, v52, v25
	v_and_b32_e32 v34, 0xff, v24
	ds_load_2addr_b64 v[24:27], v137 offset0:90 offset1:99
	v_and_b32_e32 v36, 0xff, v32
	v_lshl_add_u32 v143, v35, 3, v42
	v_lshlrev_b32_e32 v51, 4, v138
	v_cmp_lt_u16_e32 vcc_lo, 5, v40
	v_lshlrev_b16 v66, 4, v65
	v_lshlrev_b32_e32 v52, 4, v52
	s_wait_alu 0xfffd
	v_cndmask_b32_e64 v40, 0, 45, vcc_lo
	s_delay_alu instid0(VALU_DEP_1) | instskip(NEXT) | instid1(VALU_DEP_1)
	v_add_nc_u32_e32 v40, v45, v40
	v_lshl_add_u32 v149, v40, 3, v42
	s_wait_loadcnt_dscnt 0x401
	v_mul_f32_e32 v57, v23, v13
	s_wait_loadcnt 0x3
	v_mul_f32_e32 v70, v28, v17
	v_lshl_add_u32 v145, v34, 3, v42
	s_wait_loadcnt 0x2
	v_mul_f32_e32 v104, v31, v9
	v_lshl_add_u32 v146, v33, 3, v42
	ds_load_2addr_b64 v[32:35], v137 offset0:108 offset1:117
	s_wait_dscnt 0x1
	v_mul_f32_e32 v67, v25, v15
	v_lshl_add_u32 v144, v36, 3, v42
	ds_load_2addr_b64 v[36:39], v137 offset0:72 offset1:81
	ds_load_2addr_b64 v[53:56], v137 offset1:9
	ds_load_2addr_b64 v[61:64], v137 offset0:18 offset1:27
	ds_load_b64 v[49:50], v137 offset:1008
	v_mul_f32_e32 v58, v22, v13
	v_dual_mul_f32 v69, v29, v17 :: v_dual_mul_f32 v68, v24, v15
	v_mul_f32_e32 v71, v27, v19
	v_mul_f32_e32 v103, v26, v19
	s_delay_alu instid0(VALU_DEP_4)
	v_dual_mul_f32 v105, v30, v9 :: v_dual_fmac_f32 v58, v23, v12
	v_fma_f32 v23, v24, v14, -v67
	v_fma_f32 v22, v22, v12, -v57
	v_fmac_f32_e32 v68, v25, v14
	v_fmac_f32_e32 v70, v29, v16
	;; [unrolled: 1-line block ×3, first 2 shown]
	v_fma_f32 v25, v30, v8, -v104
	global_wb scope:SCOPE_SE
	s_wait_loadcnt_dscnt 0x0
	s_barrier_signal -1
	s_barrier_wait -1
	v_dual_mul_f32 v107, v32, v11 :: v_dual_mul_f32 v108, v37, v5
	v_mul_f32_e32 v106, v33, v11
	v_mul_f32_e32 v110, v35, v7
	v_fma_f32 v24, v28, v16, -v69
	v_dual_mul_f32 v109, v36, v5 :: v_dual_mul_f32 v114, v50, v3
	v_dual_mul_f32 v111, v34, v7 :: v_dual_mul_f32 v112, v39, v1
	v_dual_mul_f32 v113, v38, v1 :: v_dual_add_f32 v30, v53, v22
	v_mul_f32_e32 v115, v49, v3
	v_fma_f32 v26, v26, v18, -v71
	v_fmac_f32_e32 v103, v27, v18
	v_fma_f32 v27, v36, v4, -v108
	v_fmac_f32_e32 v107, v33, v10
	v_fma_f32 v28, v32, v10, -v106
	v_fma_f32 v32, v34, v6, -v110
	v_add_f32_e32 v36, v55, v24
	v_dual_add_f32 v106, v63, v27 :: v_dual_fmac_f32 v109, v37, v4
	v_fmac_f32_e32 v111, v35, v6
	v_fma_f32 v29, v38, v0, -v112
	v_fma_f32 v34, v49, v2, -v114
	v_dual_fmac_f32 v115, v50, v2 :: v_dual_add_f32 v108, v27, v32
	v_dual_add_f32 v33, v54, v58 :: v_dual_sub_f32 v114, v27, v32
	s_delay_alu instid0(VALU_DEP_4)
	v_dual_add_f32 v35, v58, v68 :: v_dual_add_f32 v116, v20, v29
	v_sub_f32_e32 v38, v22, v23
	v_dual_sub_f32 v49, v70, v103 :: v_dual_sub_f32 v120, v29, v34
	v_dual_add_f32 v50, v56, v70 :: v_dual_fmac_f32 v113, v39, v0
	v_add_f32_e32 v104, v105, v107
	v_add_f32_e32 v57, v70, v103
	v_dual_sub_f32 v70, v105, v107 :: v_dual_sub_f32 v37, v58, v68
	v_sub_f32_e32 v58, v24, v26
	v_sub_f32_e32 v110, v109, v111
	v_dual_add_f32 v31, v22, v23 :: v_dual_add_f32 v112, v64, v109
	v_dual_add_f32 v39, v24, v26 :: v_dual_sub_f32 v118, v113, v115
	v_dual_add_f32 v26, v36, v26 :: v_dual_add_f32 v69, v25, v28
	v_fmac_f32_e32 v56, -0.5, v57
	v_dual_add_f32 v67, v61, v25 :: v_dual_add_f32 v22, v30, v23
	v_add_f32_e32 v71, v62, v105
	v_dual_add_f32 v109, v109, v111 :: v_dual_add_f32 v32, v106, v32
	v_sub_f32_e32 v105, v25, v28
	v_add_f32_e32 v119, v21, v113
	v_add_f32_e32 v113, v113, v115
	v_fma_f32 v24, -0.5, v31, v53
	v_add_f32_e32 v117, v29, v34
	v_fma_f32 v25, -0.5, v35, v54
	v_fma_f32 v55, -0.5, v39, v55
	;; [unrolled: 1-line block ×4, first 2 shown]
	v_add_f32_e32 v23, v33, v68
	v_dual_add_f32 v27, v50, v103 :: v_dual_fmamk_f32 v36, v37, 0x3f5db3d7, v24
	v_fma_f32 v63, -0.5, v108, v63
	v_fmac_f32_e32 v64, -0.5, v109
	v_fmac_f32_e32 v24, 0xbf5db3d7, v37
	v_fma_f32 v20, -0.5, v117, v20
	v_fmamk_f32 v37, v38, 0xbf5db3d7, v25
	v_fmamk_f32 v39, v58, 0xbf5db3d7, v56
	v_dual_fmac_f32 v56, 0x3f5db3d7, v58 :: v_dual_fmac_f32 v21, -0.5, v113
	v_dual_fmac_f32 v25, 0x3f5db3d7, v38 :: v_dual_add_f32 v28, v67, v28
	v_dual_add_f32 v29, v71, v107 :: v_dual_fmamk_f32 v38, v49, 0x3f5db3d7, v55
	v_fmac_f32_e32 v55, 0xbf5db3d7, v49
	v_dual_add_f32 v33, v112, v111 :: v_dual_fmamk_f32 v50, v105, 0xbf5db3d7, v31
	v_fmamk_f32 v49, v70, 0x3f5db3d7, v30
	global_inv scope:SCOPE_SE
	v_dual_add_f32 v34, v116, v34 :: v_dual_add_f32 v35, v119, v115
	v_fmamk_f32 v54, v114, 0xbf5db3d7, v64
	v_fmac_f32_e32 v30, 0xbf5db3d7, v70
	v_fmac_f32_e32 v31, 0x3f5db3d7, v105
	v_fmamk_f32 v53, v110, 0x3f5db3d7, v63
	v_fmac_f32_e32 v63, 0xbf5db3d7, v110
	v_fmac_f32_e32 v64, 0x3f5db3d7, v114
	v_fmamk_f32 v57, v118, 0x3f5db3d7, v20
	v_fmac_f32_e32 v20, 0xbf5db3d7, v118
	v_fmamk_f32 v58, v120, 0xbf5db3d7, v21
	v_fmac_f32_e32 v21, 0x3f5db3d7, v120
	ds_store_2addr_b64 v142, v[22:23], v[36:37] offset1:5
	ds_store_b64 v142, v[24:25] offset:80
	ds_store_2addr_b64 v146, v[26:27], v[38:39] offset1:5
	ds_store_b64 v146, v[55:56] offset:80
	;; [unrolled: 2-line block ×5, first 2 shown]
	global_wb scope:SCOPE_SE
	s_wait_dscnt 0x0
	s_barrier_signal -1
	s_barrier_wait -1
	global_inv scope:SCOPE_SE
	s_clause 0x1
	global_load_b128 v[36:39], v51, s[10:11] offset:80
	global_load_b128 v[28:31], v51, s[10:11] offset:128
	v_and_b32_e32 v20, 0xf0, v66
	v_and_b32_e32 v49, 0xff, v59
	global_load_b128 v[32:35], v[46:47], off offset:80
	v_add_co_u32 v20, s2, s10, v20
	v_lshlrev_b32_e32 v22, 4, v49
	s_wait_alu 0xf1ff
	v_add_co_ci_u32_e64 v21, null, s11, 0, s2
	s_clause 0x1
	global_load_b128 v[24:27], v22, s[10:11] offset:80
	global_load_b128 v[20:23], v[20:21], off offset:80
	ds_load_2addr_b64 v[53:56], v137 offset0:36 offset1:45
	ds_load_2addr_b64 v[61:64], v137 offset0:90 offset1:99
	;; [unrolled: 1-line block ×3, first 2 shown]
	v_and_b32_e32 v45, 0xff, v65
	ds_load_2addr_b64 v[65:68], v137 offset0:54 offset1:63
	s_add_nc_u64 s[2:3], s[8:9], 0x438
	s_wait_loadcnt_dscnt 0x403
	v_dual_mul_f32 v50, v55, v37 :: v_dual_and_b32 v43, 0xffff, v43
	s_wait_dscnt 0x2
	v_dual_mul_f32 v58, v61, v39 :: v_dual_lshlrev_b32 v47, 4, v41
	s_wait_loadcnt 0x2
	v_mul_f32_e32 v70, v64, v35
	v_fmac_f32_e32 v50, v56, v36
	v_mul_u32_u24_e32 v43, 45, v43
	v_fmac_f32_e32 v58, v62, v38
	s_wait_dscnt 0x0
	v_dual_mul_f32 v116, v67, v29 :: v_dual_mul_f32 v57, v62, v39
	v_mul_f32_e32 v118, v103, v31
	v_add_nc_u32_e32 v43, v43, v49
	s_wait_loadcnt 0x1
	v_dual_mul_f32 v49, v56, v37 :: v_dual_mul_f32 v122, v105, v27
	v_lshl_add_u32 v147, v45, 3, v42
	v_dual_mul_f32 v59, v66, v33 :: v_dual_fmac_f32 v118, v104, v30
	v_lshl_add_u32 v148, v43, 3, v42
	ds_load_2addr_b64 v[40:43], v137 offset0:72 offset1:81
	ds_load_2addr_b64 v[107:110], v137 offset1:9
	ds_load_2addr_b64 v[111:114], v137 offset0:18 offset1:27
	ds_load_b64 v[45:46], v137 offset:1008
	v_dual_mul_f32 v69, v65, v33 :: v_dual_fmac_f32 v122, v106, v26
	v_fma_f32 v49, v55, v36, -v49
	v_fma_f32 v56, v65, v32, -v59
	v_fmac_f32_e32 v116, v68, v28
	v_fma_f32 v55, v61, v38, -v57
	v_fma_f32 v57, v63, v34, -v70
	v_mul_f32_e32 v121, v106, v27
	global_wb scope:SCOPE_SE
	s_wait_loadcnt_dscnt 0x0
	s_barrier_signal -1
	s_barrier_wait -1
	global_inv scope:SCOPE_SE
	v_mul_f32_e32 v124, v42, v21
	v_mul_f32_e32 v115, v68, v29
	;; [unrolled: 1-line block ×8, first 2 shown]
	v_dual_mul_f32 v125, v46, v23 :: v_dual_fmac_f32 v124, v43, v20
	v_fma_f32 v59, v67, v28, -v115
	v_fmac_f32_e32 v126, v46, v22
	v_fma_f32 v61, v103, v30, -v117
	v_fmac_f32_e32 v69, v66, v32
	v_dual_fmac_f32 v120, v41, v24 :: v_dual_fmac_f32 v71, v64, v34
	v_fma_f32 v63, v45, v22, -v125
	s_delay_alu instid0(VALU_DEP_4)
	v_dual_add_f32 v70, v59, v61 :: v_dual_add_f32 v43, v49, v55
	v_add_f32_e32 v104, v112, v116
	v_sub_f32_e32 v64, v50, v58
	v_fma_f32 v40, v40, v24, -v119
	v_dual_add_f32 v45, v108, v50 :: v_dual_sub_f32 v66, v69, v71
	v_add_f32_e32 v46, v50, v58
	v_fma_f32 v41, v42, v20, -v123
	v_add_f32_e32 v50, v56, v57
	v_add_f32_e32 v42, v107, v49
	v_fma_f32 v62, v105, v26, -v121
	v_dual_add_f32 v67, v110, v69 :: v_dual_add_f32 v68, v69, v71
	v_sub_f32_e32 v65, v49, v55
	v_add_f32_e32 v49, v109, v56
	v_dual_sub_f32 v69, v56, v57 :: v_dual_add_f32 v106, v113, v40
	v_dual_add_f32 v56, v111, v59 :: v_dual_add_f32 v105, v116, v118
	v_add_f32_e32 v117, v114, v120
	v_fma_f32 v109, -0.5, v50, v109
	v_dual_add_f32 v50, v104, v118 :: v_dual_add_f32 v127, v54, v124
	v_add_f32_e32 v123, v41, v63
	v_dual_sub_f32 v103, v116, v118 :: v_dual_sub_f32 v128, v41, v63
	v_sub_f32_e32 v59, v59, v61
	v_add_f32_e32 v115, v40, v62
	v_sub_f32_e32 v116, v120, v122
	v_dual_add_f32 v119, v120, v122 :: v_dual_fmac_f32 v110, -0.5, v68
	v_dual_sub_f32 v120, v40, v62 :: v_dual_add_f32 v121, v53, v41
	v_sub_f32_e32 v125, v124, v126
	v_add_f32_e32 v124, v124, v126
	v_add_f32_e32 v40, v42, v55
	v_fma_f32 v42, -0.5, v43, v107
	v_fma_f32 v43, -0.5, v46, v108
	v_add_f32_e32 v41, v45, v58
	v_add_f32_e32 v45, v49, v57
	;; [unrolled: 1-line block ×3, first 2 shown]
	v_fma_f32 v55, -0.5, v70, v111
	v_fma_f32 v56, -0.5, v105, v112
	v_add_f32_e32 v57, v106, v62
	v_add_f32_e32 v58, v117, v122
	;; [unrolled: 1-line block ×3, first 2 shown]
	v_fma_f32 v53, -0.5, v123, v53
	v_add_f32_e32 v46, v67, v71
	v_fma_f32 v113, -0.5, v115, v113
	v_fmac_f32_e32 v114, -0.5, v119
	v_dual_add_f32 v61, v121, v63 :: v_dual_fmac_f32 v54, -0.5, v124
	v_fmamk_f32 v63, v64, 0x3f5db3d7, v42
	v_fmac_f32_e32 v42, 0xbf5db3d7, v64
	v_fmamk_f32 v64, v65, 0xbf5db3d7, v43
	v_fmac_f32_e32 v43, 0x3f5db3d7, v65
	v_fmamk_f32 v65, v66, 0x3f5db3d7, v109
	v_dual_fmac_f32 v109, 0xbf5db3d7, v66 :: v_dual_fmamk_f32 v70, v120, 0xbf5db3d7, v114
	v_fmamk_f32 v66, v69, 0xbf5db3d7, v110
	v_dual_fmac_f32 v110, 0x3f5db3d7, v69 :: v_dual_fmamk_f32 v67, v103, 0x3f5db3d7, v55
	v_dual_fmac_f32 v55, 0xbf5db3d7, v103 :: v_dual_fmamk_f32 v104, v128, 0xbf5db3d7, v54
	v_fmamk_f32 v68, v59, 0xbf5db3d7, v56
	v_fmamk_f32 v103, v125, 0x3f5db3d7, v53
	v_fmac_f32_e32 v53, 0xbf5db3d7, v125
	v_dual_fmac_f32 v56, 0x3f5db3d7, v59 :: v_dual_fmamk_f32 v69, v116, 0x3f5db3d7, v113
	v_fmac_f32_e32 v113, 0xbf5db3d7, v116
	v_fmac_f32_e32 v114, 0x3f5db3d7, v120
	;; [unrolled: 1-line block ×3, first 2 shown]
	ds_store_2addr_b64 v137, v[40:41], v[63:64] offset1:15
	ds_store_b64 v137, v[42:43] offset:240
	ds_store_2addr_b64 v149, v[45:46], v[65:66] offset1:15
	ds_store_b64 v149, v[109:110] offset:240
	ds_store_2addr_b64 v137, v[49:50], v[67:68] offset0:48 offset1:63
	ds_store_b64 v137, v[55:56] offset:624
	ds_store_2addr_b64 v148, v[57:58], v[69:70] offset1:15
	ds_store_b64 v148, v[113:114] offset:240
	ds_store_2addr_b64 v147, v[61:62], v[103:104] offset0:90 offset1:105
	ds_store_b64 v147, v[53:54] offset:960
	global_wb scope:SCOPE_SE
	s_wait_dscnt 0x0
	s_barrier_signal -1
	s_barrier_wait -1
	global_inv scope:SCOPE_SE
	global_load_b128 v[40:43], v51, s[10:11] offset:320
	v_lshlrev_b32_e32 v49, 4, v44
	global_load_b128 v[44:47], v47, s[10:11] offset:320
	v_lshlrev_b32_e32 v53, 4, v48
	s_clause 0x2
	global_load_b128 v[48:51], v49, s[10:11] offset:320
	global_load_b128 v[56:59], v53, s[10:11] offset:320
	;; [unrolled: 1-line block ×3, first 2 shown]
	ds_load_2addr_b64 v[61:64], v137 offset0:36 offset1:45
	ds_load_2addr_b64 v[65:68], v137 offset0:90 offset1:99
	;; [unrolled: 1-line block ×5, first 2 shown]
	ds_load_2addr_b64 v[115:118], v137 offset1:9
	ds_load_b64 v[69:70], v137 offset:1008
	ds_load_2addr_b64 v[119:122], v137 offset0:18 offset1:27
	s_wait_loadcnt_dscnt 0x406
	v_dual_mul_f32 v123, v63, v41 :: v_dual_mul_f32 v124, v66, v43
	s_wait_loadcnt_dscnt 0x305
	v_mul_f32_e32 v126, v104, v45
	v_mul_f32_e32 v71, v64, v41
	v_mul_f32_e32 v127, v103, v45
	s_wait_loadcnt 0x2
	v_dual_mul_f32 v129, v67, v47 :: v_dual_mul_f32 v130, v106, v49
	s_wait_dscnt 0x4
	v_mul_f32_e32 v132, v108, v51
	s_wait_loadcnt_dscnt 0x3
	v_mul_f32_e32 v152, v113, v53
	v_mul_f32_e32 v134, v112, v57
	;; [unrolled: 1-line block ×4, first 2 shown]
	s_wait_dscnt 0x1
	v_mul_f32_e32 v154, v69, v55
	v_mul_f32_e32 v133, v107, v51
	v_fmac_f32_e32 v123, v64, v40
	v_fma_f32 v64, v65, v42, -v124
	v_fma_f32 v65, v103, v44, -v126
	v_dual_mul_f32 v128, v68, v47 :: v_dual_mul_f32 v131, v105, v49
	v_fmac_f32_e32 v152, v114, v52
	v_mul_f32_e32 v136, v110, v59
	v_fma_f32 v63, v63, v40, -v71
	v_fma_f32 v71, v107, v50, -v132
	v_fmac_f32_e32 v129, v68, v46
	v_fma_f32 v68, v111, v56, -v134
	v_fmac_f32_e32 v150, v110, v58
	v_fmac_f32_e32 v154, v70, v54
	v_dual_fmac_f32 v133, v108, v50 :: v_dual_add_f32 v108, v117, v65
	s_wait_dscnt 0x0
	v_dual_add_f32 v132, v121, v68 :: v_dual_mul_f32 v135, v111, v57
	v_fmac_f32_e32 v127, v104, v44
	v_fmac_f32_e32 v125, v66, v42
	v_fma_f32 v66, v105, v48, -v130
	v_dual_mul_f32 v151, v114, v53 :: v_dual_add_f32 v104, v116, v123
	v_fmac_f32_e32 v135, v112, v56
	v_fma_f32 v67, v67, v46, -v128
	s_delay_alu instid0(VALU_DEP_4)
	v_add_f32_e32 v124, v119, v66
	v_add_f32_e32 v126, v66, v71
	v_dual_fmac_f32 v131, v106, v48 :: v_dual_sub_f32 v112, v127, v129
	v_dual_mul_f32 v153, v70, v55 :: v_dual_sub_f32 v110, v123, v125
	v_fma_f32 v105, v109, v58, -v136
	v_add_f32_e32 v70, v63, v64
	v_fma_f32 v103, v113, v52, -v151
	s_delay_alu instid0(VALU_DEP_4)
	v_fma_f32 v107, v69, v54, -v153
	v_add_f32_e32 v106, v123, v125
	v_add_f32_e32 v114, v127, v129
	v_dual_sub_f32 v111, v63, v64 :: v_dual_add_f32 v128, v120, v131
	v_dual_add_f32 v109, v65, v67 :: v_dual_add_f32 v130, v131, v133
	v_dual_add_f32 v69, v115, v63 :: v_dual_add_f32 v134, v68, v105
	v_dual_add_f32 v113, v118, v127 :: v_dual_sub_f32 v136, v135, v150
	v_dual_sub_f32 v123, v65, v67 :: v_dual_add_f32 v158, v62, v152
	v_sub_f32_e32 v127, v131, v133
	v_add_f32_e32 v151, v122, v135
	v_add_f32_e32 v135, v135, v150
	v_dual_sub_f32 v153, v68, v105 :: v_dual_add_f32 v156, v103, v107
	v_fma_f32 v65, -0.5, v70, v115
	v_add_f32_e32 v70, v128, v133
	s_delay_alu instid0(VALU_DEP_4)
	v_dual_sub_f32 v157, v152, v154 :: v_dual_fmac_f32 v122, -0.5, v135
	v_dual_add_f32 v152, v152, v154 :: v_dual_sub_f32 v131, v66, v71
	v_fma_f32 v66, -0.5, v106, v116
	v_dual_add_f32 v155, v61, v103 :: v_dual_fmac_f32 v118, -0.5, v114
	v_fma_f32 v117, -0.5, v109, v117
	v_sub_f32_e32 v159, v103, v107
	v_dual_add_f32 v67, v108, v67 :: v_dual_fmac_f32 v62, -0.5, v152
	v_add_f32_e32 v68, v113, v129
	v_dual_add_f32 v63, v69, v64 :: v_dual_add_f32 v106, v151, v150
	v_add_f32_e32 v64, v104, v125
	v_fma_f32 v103, -0.5, v126, v119
	v_fma_f32 v104, -0.5, v130, v120
	v_fma_f32 v121, -0.5, v134, v121
	v_fma_f32 v61, -0.5, v156, v61
	v_add_f32_e32 v69, v124, v71
	v_fmamk_f32 v109, v110, 0x3f5db3d7, v65
	v_dual_fmac_f32 v65, 0xbf5db3d7, v110 :: v_dual_fmamk_f32 v110, v111, 0xbf5db3d7, v66
	v_dual_add_f32 v105, v132, v105 :: v_dual_fmac_f32 v66, 0x3f5db3d7, v111
	v_fmamk_f32 v111, v112, 0x3f5db3d7, v117
	v_dual_fmac_f32 v117, 0xbf5db3d7, v112 :: v_dual_fmamk_f32 v114, v131, 0xbf5db3d7, v104
	v_fmamk_f32 v112, v123, 0xbf5db3d7, v118
	v_fmac_f32_e32 v118, 0x3f5db3d7, v123
	v_dual_add_f32 v107, v155, v107 :: v_dual_fmamk_f32 v116, v153, 0xbf5db3d7, v122
	v_dual_add_f32 v108, v158, v154 :: v_dual_fmamk_f32 v113, v127, 0x3f5db3d7, v103
	v_fmac_f32_e32 v122, 0x3f5db3d7, v153
	v_dual_fmac_f32 v103, 0xbf5db3d7, v127 :: v_dual_fmamk_f32 v120, v159, 0xbf5db3d7, v62
	v_dual_fmamk_f32 v115, v136, 0x3f5db3d7, v121 :: v_dual_fmac_f32 v62, 0x3f5db3d7, v159
	v_fmac_f32_e32 v121, 0xbf5db3d7, v136
	v_dual_fmamk_f32 v119, v157, 0x3f5db3d7, v61 :: v_dual_fmac_f32 v104, 0x3f5db3d7, v131
	v_fmac_f32_e32 v61, 0xbf5db3d7, v157
	ds_store_b64 v137, v[109:110] offset:360
	ds_store_b64 v137, v[65:66] offset:720
	ds_store_2addr_b64 v137, v[63:64], v[67:68] offset1:9
	ds_store_b64 v137, v[117:118] offset:792
	ds_store_2addr_b64 v137, v[111:112], v[113:114] offset0:54 offset1:63
	ds_store_2addr_b64 v137, v[69:70], v[105:106] offset0:18 offset1:27
	;; [unrolled: 1-line block ×4, first 2 shown]
	ds_store_b64 v137, v[107:108] offset:288
	ds_store_b64 v137, v[61:62] offset:1008
	global_wb scope:SCOPE_SE
	s_wait_dscnt 0x0
	s_barrier_signal -1
	s_barrier_wait -1
	global_inv scope:SCOPE_SE
	s_clause 0xe
	global_load_b64 v[107:108], v60, s[8:9] offset:1080
	global_load_b64 v[105:106], v60, s[2:3] offset:216
	;; [unrolled: 1-line block ×15, first 2 shown]
	ds_load_2addr_b64 v[68:71], v137 offset1:9
	v_mad_co_u64_u32 v[103:104], null, s6, v102, 0
	ds_load_2addr_b64 v[60:63], v137 offset0:18 offset1:27
	ds_load_2addr_b64 v[64:67], v137 offset0:54 offset1:63
	;; [unrolled: 1-line block ×4, first 2 shown]
	v_mad_co_u64_u32 v[135:136], null, s4, v138, 0
	s_load_b64 s[2:3], s[0:1], 0x38
	s_mul_u64 s[0:1], s[4:5], 0xd8
	s_wait_loadcnt_dscnt 0xe04
	v_mul_f32_e32 v170, v68, v108
	s_wait_loadcnt 0xd
	v_mad_co_u64_u32 v[166:167], null, s7, v102, v[104:105]
	v_mul_f32_e32 v102, v69, v108
	ds_load_2addr_b64 v[158:161], v137 offset0:36 offset1:45
	ds_load_2addr_b64 v[162:165], v137 offset0:90 offset1:99
	ds_load_b64 v[167:168], v137 offset:1008
	s_wait_dscnt 0x6
	v_mul_f32_e32 v104, v63, v106
	v_mul_f32_e32 v108, v62, v106
	s_wait_loadcnt 0xb
	v_mul_f32_e32 v172, v70, v118
	s_wait_dscnt 0x5
	v_dual_fmac_f32 v170, v69, v107 :: v_dual_mul_f32 v69, v64, v110
	v_mul_f32_e32 v106, v71, v118
	v_mul_f32_e32 v173, v65, v110
	v_fma_f32 v169, v68, v107, -v102
	s_wait_loadcnt_dscnt 0xa04
	v_mul_f32_e32 v102, v153, v114
	v_fmac_f32_e32 v69, v65, v109
	v_fma_f32 v171, v70, v117, -v106
	s_wait_loadcnt_dscnt 0x903
	v_mul_f32_e32 v106, v154, v112
	s_wait_loadcnt 0x8
	v_mul_f32_e32 v70, v67, v124
	v_fma_f32 v107, v62, v105, -v104
	s_wait_loadcnt 0x4
	v_mul_f32_e32 v104, v61, v126
	s_mov_b32 s6, 0xc901e574
	v_fmac_f32_e32 v106, v155, v111
	s_wait_dscnt 0x2
	v_mul_f32_e32 v65, v159, v116
	v_dual_fmac_f32 v172, v71, v117 :: v_dual_mul_f32 v71, v152, v114
	v_mul_f32_e32 v110, v66, v124
	v_mul_f32_e32 v117, v155, v112
	v_fma_f32 v68, v64, v109, -v173
	v_fma_f32 v109, v66, v123, -v70
	s_delay_alu instid0(VALU_DEP_4)
	v_dual_fmac_f32 v71, v153, v113 :: v_dual_fmac_f32 v110, v67, v123
	s_wait_dscnt 0x1
	v_mul_f32_e32 v67, v163, v120
	v_mul_f32_e32 v123, v157, v122
	;; [unrolled: 1-line block ×5, first 2 shown]
	v_fma_f32 v70, v152, v113, -v102
	s_wait_loadcnt 0x3
	v_mul_f32_e32 v102, v161, v130
	v_mul_f32_e32 v62, v160, v130
	;; [unrolled: 1-line block ×3, first 2 shown]
	v_fmac_f32_e32 v108, v63, v105
	v_fma_f32 v105, v154, v111, -v117
	s_wait_loadcnt 0x2
	v_mul_f32_e32 v117, v151, v128
	v_mul_f32_e32 v116, v150, v128
	v_fma_f32 v63, v158, v115, -v65
	s_wait_loadcnt 0x1
	v_mul_f32_e32 v122, v165, v132
	v_mul_f32_e32 v118, v164, v132
	v_fma_f32 v65, v162, v119, -v67
	s_wait_loadcnt_dscnt 0x0
	v_mul_f32_e32 v67, v168, v134
	v_mul_f32_e32 v120, v167, v134
	v_fma_f32 v111, v156, v121, -v123
	v_fmac_f32_e32 v112, v157, v121
	v_fma_f32 v113, v60, v125, -v104
	v_fmac_f32_e32 v114, v61, v125
	v_fmac_f32_e32 v64, v159, v115
	v_fma_f32 v61, v160, v129, -v102
	v_fmac_f32_e32 v62, v161, v129
	;; [unrolled: 3-line block ×3, first 2 shown]
	v_fma_f32 v117, v164, v131, -v122
	v_fmac_f32_e32 v118, v165, v131
	v_fma_f32 v119, v167, v133, -v67
	v_fmac_f32_e32 v120, v168, v133
	ds_store_2addr_b64 v137, v[169:170], v[171:172] offset1:9
	ds_store_2addr_b64 v137, v[68:69], v[109:110] offset0:54 offset1:63
	ds_store_2addr_b64 v137, v[105:106], v[111:112] offset0:108 offset1:117
	ds_store_2addr_b64 v137, v[113:114], v[107:108] offset0:18 offset1:27
	ds_store_2addr_b64 v137, v[63:64], v[61:62] offset0:36 offset1:45
	ds_store_2addr_b64 v137, v[115:116], v[70:71] offset0:72 offset1:81
	ds_store_2addr_b64 v137, v[65:66], v[117:118] offset0:90 offset1:99
	ds_store_b64 v137, v[119:120] offset:1008
	v_mad_co_u64_u32 v[113:114], null, s5, v138, v[136:137]
	global_wb scope:SCOPE_SE
	s_wait_dscnt 0x0
	s_wait_kmcnt 0x0
	s_barrier_signal -1
	s_barrier_wait -1
	global_inv scope:SCOPE_SE
	ds_load_2addr_b64 v[60:63], v137 offset1:9
	ds_load_2addr_b64 v[64:67], v137 offset0:18 offset1:27
	ds_load_2addr_b64 v[68:71], v137 offset0:54 offset1:63
	;; [unrolled: 1-line block ×4, first 2 shown]
	s_mov_b32 s7, 0x3f7e573a
	v_mov_b32_e32 v136, v113
	ds_load_2addr_b64 v[113:116], v137 offset0:36 offset1:45
	ds_load_2addr_b64 v[117:120], v137 offset0:90 offset1:99
	ds_load_b64 v[121:122], v137 offset:1008
	v_mov_b32_e32 v104, v166
	global_wb scope:SCOPE_SE
	s_wait_dscnt 0x0
	s_barrier_signal -1
	s_barrier_wait -1
	global_inv scope:SCOPE_SE
	v_dual_add_f32 v131, v61, v67 :: v_dual_sub_f32 v126, v66, v68
	v_add_f32_e32 v132, v69, v108
	v_sub_f32_e32 v127, v109, v107
	v_add_f32_e32 v151, v67, v110
	s_delay_alu instid0(VALU_DEP_4)
	v_dual_add_f32 v131, v131, v69 :: v_dual_add_f32 v102, v60, v66
	v_dual_add_f32 v123, v68, v107 :: v_dual_sub_f32 v124, v67, v110
	v_dual_sub_f32 v129, v68, v66 :: v_dual_sub_f32 v130, v107, v109
	v_sub_f32_e32 v133, v66, v109
	v_dual_sub_f32 v167, v114, v71 :: v_dual_sub_f32 v168, v112, v118
	v_dual_sub_f32 v152, v69, v67 :: v_dual_sub_f32 v173, v116, v122
	v_dual_sub_f32 v176, v105, v115 :: v_dual_add_f32 v179, v116, v122
	v_dual_add_f32 v126, v126, v127 :: v_dual_sub_f32 v127, v119, v121
	v_sub_f32_e32 v138, v67, v69
	v_fma_f32 v67, -0.5, v132, v61
	v_fma_f32 v61, -0.5, v151, v61
	v_sub_f32_e32 v151, v120, v122
	v_dual_add_f32 v127, v176, v127 :: v_dual_add_f32 v128, v66, v109
	v_add_f32_e32 v129, v129, v130
	v_sub_f32_e32 v125, v69, v108
	v_sub_f32_e32 v153, v108, v110
	v_add_f32_e32 v155, v70, v117
	v_dual_sub_f32 v161, v70, v113 :: v_dual_sub_f32 v162, v117, v111
	v_add_f32_e32 v131, v131, v108
	v_add_f32_e32 v163, v63, v114
	;; [unrolled: 1-line block ×3, first 2 shown]
	v_sub_f32_e32 v150, v110, v108
	v_dual_add_f32 v177, v65, v116 :: v_dual_add_f32 v154, v62, v113
	v_fma_f32 v66, -0.5, v123, v60
	v_fma_f32 v60, -0.5, v128, v60
	v_add_f32_e32 v164, v71, v118
	v_dual_sub_f32 v134, v68, v107 :: v_dual_sub_f32 v157, v71, v118
	v_sub_f32_e32 v158, v113, v70
	v_dual_sub_f32 v165, v113, v111 :: v_dual_sub_f32 v166, v70, v117
	v_sub_f32_e32 v170, v71, v114
	v_add_f32_e32 v172, v64, v115
	v_sub_f32_e32 v156, v114, v112
	v_sub_f32_e32 v174, v115, v105
	v_add_f32_e32 v175, v115, v121
	v_dual_sub_f32 v178, v115, v121 :: v_dual_sub_f32 v115, v116, v106
	v_sub_f32_e32 v181, v106, v120
	v_add_f32_e32 v123, v106, v120
	v_fma_f32 v114, -0.5, v164, v63
	v_dual_fmac_f32 v63, -0.5, v169 :: v_dual_add_f32 v130, v138, v150
	v_sub_f32_e32 v138, v122, v120
	v_add_f32_e32 v160, v113, v111
	v_fma_f32 v113, -0.5, v155, v62
	v_dual_add_f32 v155, v167, v168 :: v_dual_add_f32 v132, v152, v153
	v_add_f32_e32 v153, v161, v162
	v_add_f32_e32 v161, v177, v106
	;; [unrolled: 1-line block ×3, first 2 shown]
	v_dual_add_f32 v154, v163, v71 :: v_dual_fmamk_f32 v71, v133, 0x3f737871, v67
	v_dual_sub_f32 v159, v111, v117 :: v_dual_sub_f32 v116, v106, v116
	v_fma_f32 v69, -0.5, v123, v65
	v_dual_fmac_f32 v67, 0xbf737871, v133 :: v_dual_add_f32 v102, v102, v68
	s_delay_alu instid0(VALU_DEP_4) | instskip(SKIP_2) | instid1(VALU_DEP_4)
	v_fmac_f32_e32 v71, 0x3f167918, v134
	v_add_f32_e32 v123, v115, v138
	v_fma_f32 v62, -0.5, v160, v62
	v_fmac_f32_e32 v67, 0xbf167918, v134
	v_fmac_f32_e32 v65, -0.5, v179
	v_add_f32_e32 v150, v158, v159
	v_fmamk_f32 v106, v134, 0xbf737871, v61
	v_fmac_f32_e32 v61, 0x3f737871, v134
	v_add_f32_e32 v159, v172, v105
	v_fmamk_f32 v115, v157, 0x3f737871, v62
	v_add_f32_e32 v180, v105, v119
	v_add_f32_e32 v138, v116, v151
	v_fmamk_f32 v116, v166, 0xbf737871, v63
	v_dual_fmac_f32 v63, 0x3f737871, v166 :: v_dual_add_f32 v102, v102, v107
	v_fmamk_f32 v107, v156, 0xbf737871, v113
	v_sub_f32_e32 v171, v118, v112
	v_fmac_f32_e32 v61, 0xbf167918, v133
	s_delay_alu instid0(VALU_DEP_4)
	v_fmac_f32_e32 v63, 0xbf167918, v165
	v_add_f32_e32 v151, v152, v117
	v_dual_fmac_f32 v107, 0xbf167918, v157 :: v_dual_add_f32 v152, v154, v118
	v_fmamk_f32 v118, v178, 0x3f737871, v69
	v_fmac_f32_e32 v69, 0xbf737871, v178
	v_fma_f32 v68, -0.5, v180, v64
	v_fma_f32 v64, -0.5, v175, v64
	v_dual_sub_f32 v128, v105, v119 :: v_dual_add_f32 v109, v102, v109
	v_sub_f32_e32 v182, v121, v119
	s_delay_alu instid0(VALU_DEP_3) | instskip(SKIP_3) | instid1(VALU_DEP_4)
	v_dual_add_f32 v154, v159, v119 :: v_dual_fmamk_f32 v119, v181, 0x3f737871, v64
	v_fmamk_f32 v105, v125, 0x3f737871, v60
	v_fmac_f32_e32 v60, 0xbf737871, v125
	v_dual_fmac_f32 v113, 0x3f737871, v156 :: v_dual_fmamk_f32 v108, v165, 0x3f737871, v114
	v_fmac_f32_e32 v119, 0xbf167918, v173
	v_dual_fmamk_f32 v70, v124, 0xbf737871, v66 :: v_dual_add_f32 v121, v154, v121
	v_fmac_f32_e32 v66, 0x3f737871, v124
	v_fmac_f32_e32 v62, 0xbf737871, v157
	;; [unrolled: 1-line block ×3, first 2 shown]
	v_fmamk_f32 v117, v173, 0xbf737871, v68
	v_fmac_f32_e32 v68, 0x3f737871, v173
	v_dual_fmac_f32 v64, 0xbf737871, v181 :: v_dual_add_f32 v159, v161, v120
	v_fmamk_f32 v120, v128, 0xbf737871, v65
	v_fmac_f32_e32 v65, 0x3f737871, v128
	v_dual_fmac_f32 v70, 0xbf167918, v125 :: v_dual_fmac_f32 v69, 0xbf167918, v128
	v_fmac_f32_e32 v60, 0x3f167918, v124
	v_fmac_f32_e32 v105, 0xbf167918, v124
	;; [unrolled: 1-line block ×4, first 2 shown]
	v_dual_add_f32 v158, v170, v171 :: v_dual_fmac_f32 v113, 0x3f167918, v157
	v_fmac_f32_e32 v108, 0x3f167918, v166
	v_fmac_f32_e32 v115, 0xbf167918, v156
	;; [unrolled: 1-line block ×5, first 2 shown]
	v_dual_add_f32 v160, v174, v182 :: v_dual_add_f32 v111, v151, v111
	v_dual_add_f32 v110, v131, v110 :: v_dual_fmac_f32 v105, 0x3e9e377a, v129
	v_dual_fmac_f32 v117, 0xbf167918, v181 :: v_dual_add_f32 v112, v152, v112
	v_fmac_f32_e32 v65, 0xbf167918, v178
	v_fmac_f32_e32 v68, 0x3f167918, v181
	;; [unrolled: 1-line block ×5, first 2 shown]
	v_dual_fmac_f32 v70, 0x3e9e377a, v126 :: v_dual_fmac_f32 v115, 0x3e9e377a, v153
	v_dual_fmac_f32 v60, 0x3e9e377a, v129 :: v_dual_fmac_f32 v71, 0x3e9e377a, v130
	v_dual_add_f32 v122, v159, v122 :: v_dual_fmac_f32 v61, 0x3e9e377a, v132
	v_dual_fmac_f32 v67, 0x3e9e377a, v130 :: v_dual_fmac_f32 v106, 0x3e9e377a, v132
	v_dual_fmac_f32 v66, 0x3e9e377a, v126 :: v_dual_fmac_f32 v117, 0x3e9e377a, v160
	;; [unrolled: 1-line block ×8, first 2 shown]
	v_fmac_f32_e32 v118, 0x3e9e377a, v123
	v_fmac_f32_e32 v120, 0x3e9e377a, v138
	ds_store_2addr_b64 v141, v[109:110], v[70:71] offset1:1
	ds_store_2addr_b64 v141, v[105:106], v[60:61] offset0:2 offset1:3
	ds_store_b64 v141, v[66:67] offset:32
	ds_store_2addr_b64 v140, v[111:112], v[107:108] offset1:1
	ds_store_2addr_b64 v140, v[115:116], v[62:63] offset0:2 offset1:3
	ds_store_b64 v140, v[113:114] offset:32
	ds_store_b64 v139, v[68:69] offset:32
	ds_store_2addr_b64 v139, v[121:122], v[117:118] offset1:1
	ds_store_2addr_b64 v139, v[119:120], v[64:65] offset0:2 offset1:3
	v_lshlrev_b64_e32 v[105:106], 3, v[103:104]
	global_wb scope:SCOPE_SE
	s_wait_dscnt 0x0
	s_barrier_signal -1
	s_barrier_wait -1
	global_inv scope:SCOPE_SE
	ds_load_2addr_b64 v[60:63], v137 offset0:36 offset1:45
	ds_load_2addr_b64 v[64:67], v137 offset0:90 offset1:99
	;; [unrolled: 1-line block ×3, first 2 shown]
	v_add_co_u32 v122, vcc_lo, s2, v105
	ds_load_2addr_b64 v[102:105], v137 offset0:108 offset1:117
	s_wait_alu 0xfffd
	v_add_co_ci_u32_e32 v123, vcc_lo, s3, v106, vcc_lo
	ds_load_2addr_b64 v[106:109], v137 offset0:72 offset1:81
	ds_load_2addr_b64 v[110:113], v137 offset1:9
	ds_load_2addr_b64 v[114:117], v137 offset0:18 offset1:27
	ds_load_b64 v[120:121], v137 offset:1008
	global_wb scope:SCOPE_SE
	s_wait_dscnt 0x0
	s_barrier_signal -1
	s_barrier_wait -1
	global_inv scope:SCOPE_SE
	v_lshlrev_b64_e32 v[118:119], 3, v[135:136]
	s_mul_i32 s2, s5, 0xfffffce8
	s_wait_alu 0xfffe
	s_sub_co_i32 s2, s2, s4
	v_dual_mul_f32 v125, v15, v65 :: v_dual_mul_f32 v128, v9, v71
	v_mul_f32_e32 v15, v15, v64
	v_mul_f32_e32 v127, v19, v67
	v_mul_f32_e32 v129, v11, v103
	v_mul_f32_e32 v19, v19, v66
	v_dual_mul_f32 v131, v7, v105 :: v_dual_fmac_f32 v128, v8, v70
	v_mul_f32_e32 v9, v9, v70
	s_delay_alu instid0(VALU_DEP_4) | instskip(SKIP_1) | instid1(VALU_DEP_4)
	v_dual_fmac_f32 v129, v10, v102 :: v_dual_mul_f32 v124, v13, v63
	v_mul_f32_e32 v13, v13, v62
	v_dual_mul_f32 v130, v5, v107 :: v_dual_fmac_f32 v131, v6, v104
	v_mul_f32_e32 v11, v11, v102
	s_delay_alu instid0(VALU_DEP_4) | instskip(NEXT) | instid1(VALU_DEP_4)
	v_fmac_f32_e32 v124, v12, v62
	v_fma_f32 v12, v12, v63, -v13
	v_fma_f32 v13, v14, v65, -v15
	;; [unrolled: 1-line block ×3, first 2 shown]
	v_mul_f32_e32 v126, v17, v69
	v_mul_f32_e32 v17, v17, v68
	v_fmac_f32_e32 v125, v14, v64
	v_sub_f32_e32 v67, v128, v129
	v_dual_fmac_f32 v130, v4, v106 :: v_dual_mul_f32 v7, v7, v104
	s_delay_alu instid0(VALU_DEP_4)
	v_fma_f32 v14, v16, v69, -v17
	v_mul_f32_e32 v133, v3, v121
	v_mul_f32_e32 v3, v3, v120
	v_fmac_f32_e32 v127, v18, v66
	v_fma_f32 v8, v8, v71, -v9
	v_fma_f32 v9, v10, v103, -v11
	v_dual_sub_f32 v19, v14, v15 :: v_dual_fmac_f32 v126, v16, v68
	v_dual_sub_f32 v103, v130, v131 :: v_dual_mul_f32 v132, v1, v109
	v_mul_f32_e32 v1, v1, v108
	v_mul_f32_e32 v5, v5, v106
	v_fma_f32 v11, v6, v105, -v7
	v_add_f32_e32 v7, v126, v127
	v_fma_f32 v16, v2, v121, -v3
	v_add_f32_e32 v3, v111, v12
	v_fmac_f32_e32 v132, v0, v108
	v_fma_f32 v0, v0, v109, -v1
	v_fma_f32 v4, v4, v107, -v5
	v_fmac_f32_e32 v133, v2, v120
	v_add_f32_e32 v65, v115, v8
	v_sub_f32_e32 v17, v12, v13
	v_add_f32_e32 v107, v61, v0
	v_add_f32_e32 v69, v130, v131
	;; [unrolled: 1-line block ×7, first 2 shown]
	v_sub_f32_e32 v64, v8, v9
	v_fma_f32 v112, -0.5, v7, v112
	v_add_f32_e32 v7, v65, v9
	v_fmac_f32_e32 v61, -0.5, v108
	v_fma_f32 v9, -0.5, v66, v115
	v_sub_f32_e32 v106, v0, v16
	v_add_f32_e32 v0, v1, v125
	v_dual_add_f32 v1, v3, v13 :: v_dual_add_f32 v10, v113, v14
	v_add_f32_e32 v105, v132, v133
	v_add_f32_e32 v2, v124, v125
	v_dual_add_f32 v12, v14, v15 :: v_dual_sub_f32 v109, v132, v133
	v_add_f32_e32 v71, v117, v4
	v_add_f32_e32 v63, v128, v129
	s_delay_alu instid0(VALU_DEP_3)
	v_dual_sub_f32 v18, v124, v125 :: v_dual_fmac_f32 v113, -0.5, v12
	v_add_f32_e32 v14, v114, v128
	v_add_f32_e32 v102, v4, v11
	v_fma_f32 v3, -0.5, v5, v111
	v_add_f32_e32 v5, v10, v15
	v_fma_f32 v2, -0.5, v2, v110
	s_delay_alu instid0(VALU_DEP_4) | instskip(NEXT) | instid1(VALU_DEP_4)
	v_dual_sub_f32 v62, v126, v127 :: v_dual_fmac_f32 v117, -0.5, v102
	v_dual_add_f32 v68, v116, v130 :: v_dual_fmamk_f32 v15, v18, 0x3f5db3d7, v3
	v_fma_f32 v8, -0.5, v63, v114
	v_dual_sub_f32 v70, v4, v11 :: v_dual_fmac_f32 v3, 0xbf5db3d7, v18
	v_add_f32_e32 v104, v60, v132
	v_dual_add_f32 v4, v6, v127 :: v_dual_fmamk_f32 v65, v109, 0x3f5db3d7, v61
	v_fma_f32 v116, -0.5, v69, v116
	v_dual_add_f32 v11, v71, v11 :: v_dual_add_f32 v6, v14, v129
	v_fma_f32 v60, -0.5, v105, v60
	v_fmamk_f32 v14, v17, 0xbf5db3d7, v2
	v_dual_fmac_f32 v2, 0x3f5db3d7, v17 :: v_dual_add_f32 v13, v107, v16
	v_fmamk_f32 v16, v19, 0xbf5db3d7, v112
	v_dual_fmamk_f32 v17, v62, 0x3f5db3d7, v113 :: v_dual_fmac_f32 v112, 0x3f5db3d7, v19
	v_dual_fmac_f32 v113, 0xbf5db3d7, v62 :: v_dual_add_f32 v10, v68, v131
	v_dual_fmac_f32 v61, 0xbf5db3d7, v109 :: v_dual_fmamk_f32 v18, v64, 0xbf5db3d7, v8
	v_dual_fmac_f32 v8, 0x3f5db3d7, v64 :: v_dual_fmamk_f32 v19, v67, 0x3f5db3d7, v9
	v_dual_fmac_f32 v9, 0xbf5db3d7, v67 :: v_dual_add_f32 v12, v104, v133
	v_fmamk_f32 v62, v70, 0xbf5db3d7, v116
	v_dual_fmac_f32 v116, 0x3f5db3d7, v70 :: v_dual_fmamk_f32 v63, v103, 0x3f5db3d7, v117
	v_dual_fmac_f32 v117, 0xbf5db3d7, v103 :: v_dual_fmamk_f32 v64, v106, 0xbf5db3d7, v60
	v_fmac_f32_e32 v60, 0x3f5db3d7, v106
	ds_store_2addr_b64 v142, v[0:1], v[14:15] offset1:5
	ds_store_b64 v142, v[2:3] offset:80
	ds_store_2addr_b64 v146, v[4:5], v[16:17] offset1:5
	ds_store_b64 v146, v[112:113] offset:80
	;; [unrolled: 2-line block ×5, first 2 shown]
	global_wb scope:SCOPE_SE
	s_wait_dscnt 0x0
	s_barrier_signal -1
	s_barrier_wait -1
	global_inv scope:SCOPE_SE
	ds_load_2addr_b64 v[4:7], v137 offset0:36 offset1:45
	ds_load_2addr_b64 v[8:11], v137 offset0:90 offset1:99
	;; [unrolled: 1-line block ×5, first 2 shown]
	ds_load_2addr_b64 v[64:67], v137 offset1:9
	ds_load_2addr_b64 v[68:71], v137 offset0:18 offset1:27
	ds_load_b64 v[102:103], v137 offset:1008
	global_wb scope:SCOPE_SE
	s_wait_dscnt 0x0
	s_barrier_signal -1
	s_barrier_wait -1
	global_inv scope:SCOPE_SE
	v_add_co_u32 v0, vcc_lo, v122, v118
	s_wait_alu 0xfffd
	v_add_co_ci_u32_e32 v1, vcc_lo, v123, v119, vcc_lo
	s_delay_alu instid0(VALU_DEP_2) | instskip(SKIP_1) | instid1(VALU_DEP_2)
	v_add_co_u32 v2, vcc_lo, v0, s0
	s_wait_alu 0xfffd
	v_add_co_ci_u32_e32 v3, vcc_lo, s1, v1, vcc_lo
	v_mul_f32_e32 v104, v37, v7
	v_mul_f32_e32 v37, v37, v6
	v_mul_f32_e32 v105, v39, v9
	v_dual_mul_f32 v39, v39, v8 :: v_dual_mul_f32 v106, v33, v13
	v_mul_f32_e32 v113, v23, v103
	v_mul_f32_e32 v33, v33, v12
	v_mul_f32_e32 v107, v35, v11
	v_dual_mul_f32 v35, v35, v10 :: v_dual_mul_f32 v108, v29, v15
	v_mul_f32_e32 v23, v23, v102
	v_mul_f32_e32 v29, v29, v14
	v_mul_f32_e32 v109, v31, v17
	v_dual_mul_f32 v31, v31, v16 :: v_dual_mul_f32 v110, v25, v61
	v_fmac_f32_e32 v105, v38, v8
	v_mul_f32_e32 v25, v25, v60
	v_mul_f32_e32 v111, v27, v19
	v_dual_mul_f32 v27, v27, v18 :: v_dual_mul_f32 v112, v21, v63
	v_fmac_f32_e32 v107, v34, v10
	v_dual_mul_f32 v21, v21, v62 :: v_dual_fmac_f32 v106, v32, v12
	v_dual_fmac_f32 v104, v36, v6 :: v_dual_fmac_f32 v109, v30, v16
	v_fma_f32 v6, v36, v7, -v37
	v_fma_f32 v7, v38, v9, -v39
	;; [unrolled: 1-line block ×4, first 2 shown]
	v_fmac_f32_e32 v108, v28, v14
	v_fma_f32 v9, v28, v15, -v29
	v_fma_f32 v13, v30, v17, -v31
	v_dual_fmac_f32 v110, v24, v60 :: v_dual_fmac_f32 v111, v26, v18
	v_fma_f32 v10, v24, v61, -v25
	v_fma_f32 v17, v26, v19, -v27
	v_fmac_f32_e32 v112, v20, v62
	v_fma_f32 v12, v20, v63, -v21
	v_dual_fmac_f32 v113, v22, v102 :: v_dual_add_f32 v14, v64, v104
	v_fma_f32 v19, v22, v103, -v23
	v_dual_add_f32 v15, v104, v105 :: v_dual_add_f32 v16, v65, v6
	v_dual_add_f32 v18, v6, v7 :: v_dual_add_f32 v25, v67, v8
	v_add_f32_e32 v23, v106, v107
	v_dual_add_f32 v26, v8, v11 :: v_dual_add_f32 v37, v71, v10
	v_sub_f32_e32 v21, v6, v7
	v_dual_add_f32 v20, v66, v106 :: v_dual_add_f32 v29, v108, v109
	v_dual_add_f32 v32, v9, v13 :: v_dual_add_f32 v7, v16, v7
	v_dual_sub_f32 v22, v104, v105 :: v_dual_sub_f32 v27, v106, v107
	v_dual_sub_f32 v24, v8, v11 :: v_dual_add_f32 v31, v69, v9
	v_dual_add_f32 v28, v68, v108 :: v_dual_add_f32 v35, v110, v111
	v_dual_sub_f32 v30, v9, v13 :: v_dual_sub_f32 v39, v110, v111
	v_dual_sub_f32 v33, v108, v109 :: v_dual_add_f32 v34, v70, v110
	v_dual_add_f32 v38, v10, v17 :: v_dual_add_f32 v11, v25, v11
	v_dual_add_f32 v60, v4, v112 :: v_dual_fmac_f32 v67, -0.5, v26
	s_delay_alu instid0(VALU_DEP_3)
	v_dual_add_f32 v61, v112, v113 :: v_dual_add_f32 v16, v34, v111
	v_add_f32_e32 v102, v12, v19
	v_fma_f32 v8, -0.5, v15, v64
	v_fma_f32 v9, -0.5, v18, v65
	;; [unrolled: 1-line block ×3, first 2 shown]
	v_dual_add_f32 v6, v14, v105 :: v_dual_fmac_f32 v71, -0.5, v38
	v_fma_f32 v14, -0.5, v29, v68
	v_fma_f32 v15, -0.5, v32, v69
	v_dual_sub_f32 v36, v10, v17 :: v_dual_add_f32 v63, v5, v12
	v_dual_sub_f32 v62, v12, v19 :: v_dual_add_f32 v13, v31, v13
	v_sub_f32_e32 v103, v112, v113
	v_fma_f32 v70, -0.5, v35, v70
	v_dual_add_f32 v17, v37, v17 :: v_dual_add_f32 v10, v20, v107
	v_dual_fmac_f32 v5, -0.5, v102 :: v_dual_add_f32 v18, v60, v113
	v_fma_f32 v4, -0.5, v61, v4
	v_fmamk_f32 v20, v21, 0xbf5db3d7, v8
	v_dual_fmac_f32 v8, 0x3f5db3d7, v21 :: v_dual_fmamk_f32 v23, v27, 0x3f5db3d7, v67
	v_fmamk_f32 v21, v22, 0x3f5db3d7, v9
	v_dual_fmac_f32 v9, 0xbf5db3d7, v22 :: v_dual_fmamk_f32 v22, v24, 0xbf5db3d7, v66
	v_dual_fmac_f32 v66, 0x3f5db3d7, v24 :: v_dual_fmamk_f32 v25, v33, 0x3f5db3d7, v15
	;; [unrolled: 1-line block ×3, first 2 shown]
	v_dual_add_f32 v12, v28, v109 :: v_dual_add_f32 v19, v63, v19
	v_dual_fmac_f32 v14, 0x3f5db3d7, v30 :: v_dual_fmamk_f32 v27, v39, 0x3f5db3d7, v71
	v_dual_fmac_f32 v15, 0xbf5db3d7, v33 :: v_dual_fmamk_f32 v26, v36, 0xbf5db3d7, v70
	v_dual_fmac_f32 v70, 0x3f5db3d7, v36 :: v_dual_fmamk_f32 v29, v103, 0x3f5db3d7, v5
	v_dual_fmac_f32 v71, 0xbf5db3d7, v39 :: v_dual_fmamk_f32 v28, v62, 0xbf5db3d7, v4
	v_fmac_f32_e32 v4, 0x3f5db3d7, v62
	v_fmac_f32_e32 v5, 0xbf5db3d7, v103
	ds_store_2addr_b64 v137, v[6:7], v[20:21] offset1:15
	ds_store_b64 v137, v[8:9] offset:240
	ds_store_2addr_b64 v149, v[10:11], v[22:23] offset1:15
	ds_store_b64 v149, v[66:67] offset:240
	ds_store_2addr_b64 v137, v[12:13], v[24:25] offset0:48 offset1:63
	ds_store_b64 v137, v[14:15] offset:624
	ds_store_2addr_b64 v148, v[16:17], v[26:27] offset1:15
	ds_store_b64 v148, v[70:71] offset:240
	ds_store_2addr_b64 v147, v[18:19], v[28:29] offset0:90 offset1:105
	ds_store_b64 v147, v[4:5] offset:960
	global_wb scope:SCOPE_SE
	s_wait_dscnt 0x0
	s_barrier_signal -1
	s_barrier_wait -1
	global_inv scope:SCOPE_SE
	ds_load_2addr_b64 v[10:13], v137 offset0:36 offset1:45
	ds_load_2addr_b64 v[14:17], v137 offset0:90 offset1:99
	;; [unrolled: 1-line block ×5, first 2 shown]
	ds_load_2addr_b64 v[30:33], v137 offset1:9
	ds_load_b64 v[38:39], v137 offset:1008
	ds_load_2addr_b64 v[34:37], v137 offset0:18 offset1:27
	v_add_co_u32 v4, vcc_lo, v2, s0
	s_wait_alu 0xfffd
	v_add_co_ci_u32_e32 v5, vcc_lo, s1, v3, vcc_lo
	s_delay_alu instid0(VALU_DEP_2) | instskip(SKIP_1) | instid1(VALU_DEP_2)
	v_add_co_u32 v6, vcc_lo, v4, s0
	s_wait_alu 0xfffd
	v_add_co_ci_u32_e32 v7, vcc_lo, s1, v5, vcc_lo
	s_delay_alu instid0(VALU_DEP_2) | instskip(SKIP_1) | instid1(VALU_DEP_2)
	v_add_co_u32 v8, vcc_lo, v6, s0
	s_wait_alu 0xfffd
	v_add_co_ci_u32_e32 v9, vcc_lo, s1, v7, vcc_lo
	s_wait_dscnt 0x7
	v_mul_f32_e32 v60, v41, v13
	v_mul_f32_e32 v41, v41, v12
	s_wait_dscnt 0x5
	v_dual_mul_f32 v61, v43, v15 :: v_dual_mul_f32 v64, v49, v21
	v_dual_mul_f32 v43, v43, v14 :: v_dual_mul_f32 v62, v45, v19
	v_dual_mul_f32 v45, v45, v18 :: v_dual_fmac_f32 v60, v40, v12
	s_wait_dscnt 0x3
	v_dual_mul_f32 v63, v47, v17 :: v_dual_mul_f32 v66, v57, v27
	v_dual_mul_f32 v47, v47, v16 :: v_dual_mul_f32 v68, v53, v29
	v_dual_mul_f32 v49, v49, v20 :: v_dual_fmac_f32 v62, v44, v18
	v_dual_mul_f32 v65, v51, v23 :: v_dual_fmac_f32 v64, v48, v20
	s_delay_alu instid0(VALU_DEP_3)
	v_dual_mul_f32 v51, v51, v22 :: v_dual_fmac_f32 v68, v52, v28
	v_fma_f32 v12, v40, v13, -v41
	s_wait_dscnt 0x2
	v_dual_mul_f32 v57, v57, v26 :: v_dual_add_f32 v20, v30, v60
	v_dual_mul_f32 v67, v59, v25 :: v_dual_fmac_f32 v66, v56, v26
	s_wait_dscnt 0x1
	v_dual_mul_f32 v69, v55, v39 :: v_dual_add_f32 v26, v32, v62
	v_fmac_f32_e32 v61, v42, v14
	v_fma_f32 v13, v42, v15, -v43
	v_mul_f32_e32 v59, v59, v24
	v_fma_f32 v14, v44, v19, -v45
	v_fma_f32 v17, v46, v17, -v47
	v_mul_f32_e32 v55, v55, v38
	v_fma_f32 v15, v48, v21, -v49
	v_fma_f32 v19, v50, v23, -v51
	v_fmac_f32_e32 v63, v46, v16
	v_dual_fmac_f32 v65, v50, v22 :: v_dual_add_f32 v22, v31, v12
	v_dual_mul_f32 v53, v53, v28 :: v_dual_sub_f32 v28, v60, v61
	v_fma_f32 v16, v56, v27, -v57
	s_wait_dscnt 0x0
	v_dual_fmac_f32 v67, v58, v24 :: v_dual_add_f32 v48, v36, v66
	s_delay_alu instid0(VALU_DEP_3)
	v_fma_f32 v18, v52, v29, -v53
	v_dual_add_f32 v21, v60, v61 :: v_dual_add_f32 v42, v34, v64
	v_add_f32_e32 v24, v12, v13
	v_fma_f32 v23, v58, v25, -v59
	v_fmac_f32_e32 v69, v54, v38
	v_sub_f32_e32 v38, v14, v17
	v_fma_f32 v25, v54, v39, -v55
	v_sub_f32_e32 v44, v15, v19
	v_sub_f32_e32 v50, v16, v23
	v_add_f32_e32 v29, v62, v63
	v_dual_add_f32 v39, v33, v14 :: v_dual_add_f32 v40, v14, v17
	v_dual_sub_f32 v27, v12, v13 :: v_dual_add_f32 v54, v10, v68
	v_dual_add_f32 v45, v35, v15 :: v_dual_sub_f32 v56, v18, v25
	v_dual_add_f32 v46, v15, v19 :: v_dual_add_f32 v43, v64, v65
	v_dual_add_f32 v57, v11, v18 :: v_dual_add_f32 v58, v18, v25
	v_add_f32_e32 v12, v20, v61
	v_fma_f32 v14, -0.5, v21, v30
	v_fma_f32 v15, -0.5, v24, v31
	v_fma_f32 v32, -0.5, v29, v32
	v_add_f32_e32 v55, v68, v69
	v_add_f32_e32 v49, v66, v67
	v_dual_add_f32 v51, v37, v16 :: v_dual_add_f32 v52, v16, v23
	v_sub_f32_e32 v41, v62, v63
	v_dual_fmac_f32 v33, -0.5, v40 :: v_dual_add_f32 v18, v42, v65
	v_dual_sub_f32 v47, v64, v65 :: v_dual_add_f32 v16, v26, v63
	v_fma_f32 v20, -0.5, v43, v34
	v_sub_f32_e32 v59, v68, v69
	v_fma_f32 v21, -0.5, v46, v35
	v_dual_fmac_f32 v11, -0.5, v58 :: v_dual_fmamk_f32 v26, v27, 0xbf5db3d7, v14
	v_dual_fmac_f32 v14, 0x3f5db3d7, v27 :: v_dual_fmamk_f32 v27, v28, 0x3f5db3d7, v15
	v_dual_fmac_f32 v15, 0xbf5db3d7, v28 :: v_dual_fmamk_f32 v28, v38, 0xbf5db3d7, v32
	v_fma_f32 v10, -0.5, v55, v10
	v_dual_sub_f32 v53, v66, v67 :: v_dual_fmamk_f32 v30, v44, 0xbf5db3d7, v20
	v_dual_fmac_f32 v37, -0.5, v52 :: v_dual_fmac_f32 v32, 0x3f5db3d7, v38
	s_delay_alu instid0(VALU_DEP_3)
	v_fmamk_f32 v38, v56, 0xbf5db3d7, v10
	v_fma_f32 v36, -0.5, v49, v36
	v_dual_add_f32 v13, v22, v13 :: v_dual_add_f32 v22, v48, v67
	v_add_f32_e32 v17, v39, v17
	v_fmamk_f32 v29, v41, 0x3f5db3d7, v33
	v_fmac_f32_e32 v33, 0xbf5db3d7, v41
	v_dual_add_f32 v25, v57, v25 :: v_dual_fmac_f32 v10, 0x3f5db3d7, v56
	v_dual_fmac_f32 v20, 0x3f5db3d7, v44 :: v_dual_fmamk_f32 v31, v47, 0x3f5db3d7, v21
	v_fmamk_f32 v39, v59, 0x3f5db3d7, v11
	v_fmac_f32_e32 v11, 0xbf5db3d7, v59
	v_dual_add_f32 v19, v45, v19 :: v_dual_add_f32 v24, v54, v69
	v_add_f32_e32 v23, v51, v23
	v_dual_fmac_f32 v21, 0xbf5db3d7, v47 :: v_dual_fmamk_f32 v34, v50, 0xbf5db3d7, v36
	v_dual_fmac_f32 v36, 0x3f5db3d7, v50 :: v_dual_fmamk_f32 v35, v53, 0x3f5db3d7, v37
	v_fmac_f32_e32 v37, 0xbf5db3d7, v53
	ds_store_b64 v137, v[26:27] offset:360
	ds_store_b64 v137, v[14:15] offset:720
	ds_store_2addr_b64 v137, v[12:13], v[16:17] offset1:9
	ds_store_b64 v137, v[32:33] offset:792
	ds_store_2addr_b64 v137, v[28:29], v[30:31] offset0:54 offset1:63
	ds_store_2addr_b64 v137, v[18:19], v[22:23] offset0:18 offset1:27
	;; [unrolled: 1-line block ×4, first 2 shown]
	ds_store_b64 v137, v[24:25] offset:288
	ds_store_b64 v137, v[10:11] offset:1008
	global_wb scope:SCOPE_SE
	s_wait_dscnt 0x0
	s_barrier_signal -1
	s_barrier_wait -1
	global_inv scope:SCOPE_SE
	ds_load_2addr_b64 v[10:13], v137 offset1:9
	ds_load_2addr_b64 v[14:17], v137 offset0:18 offset1:27
	ds_load_2addr_b64 v[18:21], v137 offset0:54 offset1:63
	;; [unrolled: 1-line block ×6, first 2 shown]
	ds_load_b64 v[43:44], v137 offset:1008
	v_mad_co_u64_u32 v[38:39], null, 0xfffffce8, s4, v[8:9]
	s_wait_alu 0xfffe
	s_delay_alu instid0(VALU_DEP_1) | instskip(NEXT) | instid1(VALU_DEP_2)
	v_add_nc_u32_e32 v39, s2, v39
	v_add_co_u32 v40, vcc_lo, v38, s0
	s_wait_dscnt 0x6
	v_mul_f32_e32 v66, v91, v14
	s_wait_dscnt 0x4
	v_dual_mul_f32 v45, v83, v11 :: v_dual_mul_f32 v70, v97, v22
	v_dual_mul_f32 v46, v83, v10 :: v_dual_mul_f32 v47, v77, v17
	v_dual_mul_f32 v48, v77, v16 :: v_dual_mul_f32 v49, v75, v19
	v_dual_mul_f32 v50, v75, v18 :: v_dual_mul_f32 v51, v73, v25
	s_wait_dscnt 0x3
	v_dual_mul_f32 v52, v73, v24 :: v_dual_mul_f32 v53, v79, v27
	v_dual_mul_f32 v54, v79, v26 :: v_dual_mul_f32 v55, v81, v13
	v_dual_mul_f32 v56, v81, v12 :: v_dual_fmac_f32 v45, v82, v10
	v_fma_f32 v46, v82, v11, -v46
	s_wait_dscnt 0x2
	v_mul_f32_e32 v57, v89, v31
	v_mul_f32_e32 v58, v89, v30
	s_wait_dscnt 0x1
	v_mul_f32_e32 v62, v95, v34
	v_mul_f32_e32 v65, v91, v15
	v_fmac_f32_e32 v47, v76, v16
	v_fma_f32 v16, v76, v17, -v48
	v_mul_f32_e32 v59, v85, v21
	v_dual_mul_f32 v60, v85, v20 :: v_dual_fmac_f32 v49, v74, v18
	v_fma_f32 v48, v74, v19, -v50
	v_mul_f32_e32 v61, v95, v35
	v_mul_f32_e32 v69, v97, v23
	v_fmac_f32_e32 v51, v72, v24
	v_fma_f32 v24, v72, v25, -v52
	v_mul_f32_e32 v63, v87, v29
	v_dual_mul_f32 v64, v87, v28 :: v_dual_fmac_f32 v53, v78, v26
	v_fma_f32 v50, v78, v27, -v54
	v_mul_f32_e32 v67, v93, v33
	v_mul_f32_e32 v68, v93, v32
	v_fmac_f32_e32 v55, v80, v12
	v_fma_f32 v52, v80, v13, -v56
	v_cvt_f64_f32_e32 v[10:11], v45
	v_cvt_f64_f32_e32 v[12:13], v46
	v_mul_f32_e32 v71, v99, v37
	v_mul_f32_e32 v73, v99, v36
	v_fmac_f32_e32 v57, v88, v30
	v_fma_f32 v54, v88, v31, -v58
	v_fma_f32 v58, v94, v35, -v62
	v_fmac_f32_e32 v65, v90, v14
	v_fma_f32 v62, v90, v15, -v66
	v_cvt_f64_f32_e32 v[14:15], v47
	v_cvt_f64_f32_e32 v[16:17], v16
	s_wait_dscnt 0x0
	v_mul_f32_e32 v75, v101, v44
	v_mul_f32_e32 v77, v101, v43
	v_fmac_f32_e32 v59, v84, v20
	v_fma_f32 v56, v84, v21, -v60
	v_cvt_f64_f32_e32 v[18:19], v49
	v_cvt_f64_f32_e32 v[20:21], v48
	v_fmac_f32_e32 v61, v94, v34
	v_fmac_f32_e32 v69, v96, v22
	v_fma_f32 v66, v96, v23, -v70
	v_cvt_f64_f32_e32 v[22:23], v51
	v_cvt_f64_f32_e32 v[24:25], v24
	v_fmac_f32_e32 v63, v86, v28
	v_fma_f32 v60, v86, v29, -v64
	v_cvt_f64_f32_e32 v[26:27], v53
	v_cvt_f64_f32_e32 v[28:29], v50
	v_fmac_f32_e32 v67, v92, v32
	v_fma_f32 v64, v92, v33, -v68
	v_cvt_f64_f32_e32 v[30:31], v55
	v_cvt_f64_f32_e32 v[32:33], v52
	v_fmac_f32_e32 v71, v98, v36
	v_fma_f32 v70, v98, v37, -v73
	v_cvt_f64_f32_e32 v[34:35], v57
	v_cvt_f64_f32_e32 v[36:37], v54
	v_fmac_f32_e32 v75, v100, v43
	v_fma_f32 v43, v100, v44, -v77
	v_cvt_f64_f32_e32 v[44:45], v59
	v_cvt_f64_f32_e32 v[46:47], v56
	v_cvt_f64_f32_e32 v[48:49], v61
	v_cvt_f64_f32_e32 v[50:51], v58
	;; [unrolled: 1-line block ×14, first 2 shown]
	v_mul_f64_e32 v[10:11], s[6:7], v[10:11]
	v_mul_f64_e32 v[12:13], s[6:7], v[12:13]
	;; [unrolled: 1-line block ×8, first 2 shown]
	s_wait_alu 0xfffd
	v_add_co_ci_u32_e32 v41, vcc_lo, s1, v39, vcc_lo
	v_mul_f64_e32 v[26:27], s[6:7], v[26:27]
	v_mul_f64_e32 v[28:29], s[6:7], v[28:29]
	v_add_co_u32 v42, vcc_lo, v40, s0
	v_mul_f64_e32 v[30:31], s[6:7], v[30:31]
	v_mul_f64_e32 v[32:33], s[6:7], v[32:33]
	s_wait_alu 0xfffd
	v_add_co_ci_u32_e32 v43, vcc_lo, s1, v41, vcc_lo
	v_mul_f64_e32 v[34:35], s[6:7], v[34:35]
	v_mul_f64_e32 v[36:37], s[6:7], v[36:37]
	v_add_co_u32 v76, vcc_lo, v42, s0
	v_mul_f64_e32 v[44:45], s[6:7], v[44:45]
	v_mul_f64_e32 v[46:47], s[6:7], v[46:47]
	;; [unrolled: 1-line block ×16, first 2 shown]
	s_wait_alu 0xfffd
	v_add_co_ci_u32_e32 v77, vcc_lo, s1, v43, vcc_lo
	v_cvt_f32_f64_e32 v10, v[10:11]
	v_cvt_f32_f64_e32 v11, v[12:13]
	;; [unrolled: 1-line block ×6, first 2 shown]
	v_add_co_u32 v78, vcc_lo, v76, s0
	v_cvt_f32_f64_e32 v16, v[22:23]
	v_cvt_f32_f64_e32 v17, v[24:25]
	;; [unrolled: 1-line block ×4, first 2 shown]
	s_wait_alu 0xfffd
	v_add_co_ci_u32_e32 v79, vcc_lo, s1, v77, vcc_lo
	v_cvt_f32_f64_e32 v20, v[30:31]
	v_cvt_f32_f64_e32 v21, v[32:33]
	;; [unrolled: 1-line block ×4, first 2 shown]
	v_mad_co_u64_u32 v[80:81], null, 0xfffffce8, s4, v[78:79]
	v_cvt_f32_f64_e32 v24, v[44:45]
	v_cvt_f32_f64_e32 v25, v[46:47]
	;; [unrolled: 1-line block ×16, first 2 shown]
	v_add_nc_u32_e32 v81, s2, v81
	v_add_co_u32 v46, vcc_lo, v80, s0
	s_wait_alu 0xfffd
	s_delay_alu instid0(VALU_DEP_2) | instskip(NEXT) | instid1(VALU_DEP_2)
	v_add_co_ci_u32_e32 v47, vcc_lo, s1, v81, vcc_lo
	v_add_co_u32 v48, vcc_lo, v46, s0
	s_wait_alu 0xfffd
	s_delay_alu instid0(VALU_DEP_2) | instskip(NEXT) | instid1(VALU_DEP_2)
	v_add_co_ci_u32_e32 v49, vcc_lo, s1, v47, vcc_lo
	v_add_co_u32 v50, vcc_lo, v48, s0
	s_wait_alu 0xfffd
	s_delay_alu instid0(VALU_DEP_2) | instskip(NEXT) | instid1(VALU_DEP_2)
	v_add_co_ci_u32_e32 v51, vcc_lo, s1, v49, vcc_lo
	v_add_co_u32 v52, vcc_lo, v50, s0
	s_wait_alu 0xfffd
	s_delay_alu instid0(VALU_DEP_2)
	v_add_co_ci_u32_e32 v53, vcc_lo, s1, v51, vcc_lo
	s_clause 0x4
	global_store_b64 v[0:1], v[10:11], off
	global_store_b64 v[2:3], v[12:13], off
	;; [unrolled: 1-line block ×15, first 2 shown]
.LBB0_2:
	s_nop 0
	s_sendmsg sendmsg(MSG_DEALLOC_VGPRS)
	s_endpgm
	.section	.rodata,"a",@progbits
	.p2align	6, 0x0
	.amdhsa_kernel bluestein_single_back_len135_dim1_sp_op_CI_CI
		.amdhsa_group_segment_fixed_size 15120
		.amdhsa_private_segment_fixed_size 0
		.amdhsa_kernarg_size 104
		.amdhsa_user_sgpr_count 2
		.amdhsa_user_sgpr_dispatch_ptr 0
		.amdhsa_user_sgpr_queue_ptr 0
		.amdhsa_user_sgpr_kernarg_segment_ptr 1
		.amdhsa_user_sgpr_dispatch_id 0
		.amdhsa_user_sgpr_private_segment_size 0
		.amdhsa_wavefront_size32 1
		.amdhsa_uses_dynamic_stack 0
		.amdhsa_enable_private_segment 0
		.amdhsa_system_sgpr_workgroup_id_x 1
		.amdhsa_system_sgpr_workgroup_id_y 0
		.amdhsa_system_sgpr_workgroup_id_z 0
		.amdhsa_system_sgpr_workgroup_info 0
		.amdhsa_system_vgpr_workitem_id 0
		.amdhsa_next_free_vgpr 183
		.amdhsa_next_free_sgpr 16
		.amdhsa_reserve_vcc 1
		.amdhsa_float_round_mode_32 0
		.amdhsa_float_round_mode_16_64 0
		.amdhsa_float_denorm_mode_32 3
		.amdhsa_float_denorm_mode_16_64 3
		.amdhsa_fp16_overflow 0
		.amdhsa_workgroup_processor_mode 1
		.amdhsa_memory_ordered 1
		.amdhsa_forward_progress 0
		.amdhsa_round_robin_scheduling 0
		.amdhsa_exception_fp_ieee_invalid_op 0
		.amdhsa_exception_fp_denorm_src 0
		.amdhsa_exception_fp_ieee_div_zero 0
		.amdhsa_exception_fp_ieee_overflow 0
		.amdhsa_exception_fp_ieee_underflow 0
		.amdhsa_exception_fp_ieee_inexact 0
		.amdhsa_exception_int_div_zero 0
	.end_amdhsa_kernel
	.text
.Lfunc_end0:
	.size	bluestein_single_back_len135_dim1_sp_op_CI_CI, .Lfunc_end0-bluestein_single_back_len135_dim1_sp_op_CI_CI
                                        ; -- End function
	.section	.AMDGPU.csdata,"",@progbits
; Kernel info:
; codeLenInByte = 11532
; NumSgprs: 18
; NumVgprs: 183
; ScratchSize: 0
; MemoryBound: 0
; FloatMode: 240
; IeeeMode: 1
; LDSByteSize: 15120 bytes/workgroup (compile time only)
; SGPRBlocks: 2
; VGPRBlocks: 22
; NumSGPRsForWavesPerEU: 18
; NumVGPRsForWavesPerEU: 183
; Occupancy: 8
; WaveLimiterHint : 1
; COMPUTE_PGM_RSRC2:SCRATCH_EN: 0
; COMPUTE_PGM_RSRC2:USER_SGPR: 2
; COMPUTE_PGM_RSRC2:TRAP_HANDLER: 0
; COMPUTE_PGM_RSRC2:TGID_X_EN: 1
; COMPUTE_PGM_RSRC2:TGID_Y_EN: 0
; COMPUTE_PGM_RSRC2:TGID_Z_EN: 0
; COMPUTE_PGM_RSRC2:TIDIG_COMP_CNT: 0
	.text
	.p2alignl 7, 3214868480
	.fill 96, 4, 3214868480
	.type	__hip_cuid_9d1e21592851b5bc,@object ; @__hip_cuid_9d1e21592851b5bc
	.section	.bss,"aw",@nobits
	.globl	__hip_cuid_9d1e21592851b5bc
__hip_cuid_9d1e21592851b5bc:
	.byte	0                               ; 0x0
	.size	__hip_cuid_9d1e21592851b5bc, 1

	.ident	"AMD clang version 19.0.0git (https://github.com/RadeonOpenCompute/llvm-project roc-6.4.0 25133 c7fe45cf4b819c5991fe208aaa96edf142730f1d)"
	.section	".note.GNU-stack","",@progbits
	.addrsig
	.addrsig_sym __hip_cuid_9d1e21592851b5bc
	.amdgpu_metadata
---
amdhsa.kernels:
  - .args:
      - .actual_access:  read_only
        .address_space:  global
        .offset:         0
        .size:           8
        .value_kind:     global_buffer
      - .actual_access:  read_only
        .address_space:  global
        .offset:         8
        .size:           8
        .value_kind:     global_buffer
      - .actual_access:  read_only
        .address_space:  global
        .offset:         16
        .size:           8
        .value_kind:     global_buffer
      - .actual_access:  read_only
        .address_space:  global
        .offset:         24
        .size:           8
        .value_kind:     global_buffer
      - .actual_access:  read_only
        .address_space:  global
        .offset:         32
        .size:           8
        .value_kind:     global_buffer
      - .offset:         40
        .size:           8
        .value_kind:     by_value
      - .address_space:  global
        .offset:         48
        .size:           8
        .value_kind:     global_buffer
      - .address_space:  global
        .offset:         56
        .size:           8
        .value_kind:     global_buffer
      - .address_space:  global
        .offset:         64
        .size:           8
        .value_kind:     global_buffer
      - .address_space:  global
        .offset:         72
        .size:           8
        .value_kind:     global_buffer
      - .offset:         80
        .size:           4
        .value_kind:     by_value
      - .address_space:  global
        .offset:         88
        .size:           8
        .value_kind:     global_buffer
      - .address_space:  global
        .offset:         96
        .size:           8
        .value_kind:     global_buffer
    .group_segment_fixed_size: 15120
    .kernarg_segment_align: 8
    .kernarg_segment_size: 104
    .language:       OpenCL C
    .language_version:
      - 2
      - 0
    .max_flat_workgroup_size: 126
    .name:           bluestein_single_back_len135_dim1_sp_op_CI_CI
    .private_segment_fixed_size: 0
    .sgpr_count:     18
    .sgpr_spill_count: 0
    .symbol:         bluestein_single_back_len135_dim1_sp_op_CI_CI.kd
    .uniform_work_group_size: 1
    .uses_dynamic_stack: false
    .vgpr_count:     183
    .vgpr_spill_count: 0
    .wavefront_size: 32
    .workgroup_processor_mode: 1
amdhsa.target:   amdgcn-amd-amdhsa--gfx1201
amdhsa.version:
  - 1
  - 2
...

	.end_amdgpu_metadata
